;; amdgpu-corpus repo=ROCm/rocFFT kind=compiled arch=gfx1030 opt=O3
	.text
	.amdgcn_target "amdgcn-amd-amdhsa--gfx1030"
	.amdhsa_code_object_version 6
	.protected	bluestein_single_back_len289_dim1_half_op_CI_CI ; -- Begin function bluestein_single_back_len289_dim1_half_op_CI_CI
	.globl	bluestein_single_back_len289_dim1_half_op_CI_CI
	.p2align	8
	.type	bluestein_single_back_len289_dim1_half_op_CI_CI,@function
bluestein_single_back_len289_dim1_half_op_CI_CI: ; @bluestein_single_back_len289_dim1_half_op_CI_CI
; %bb.0:
	s_load_dwordx4 s[12:15], s[4:5], 0x28
	v_mul_u32_u24_e32 v1, 0xf10, v0
	s_mov_b32 s0, exec_lo
	v_lshrrev_b32_e32 v1, 16, v1
	v_mad_u64_u32 v[16:17], null, s6, 7, v[1:2]
	v_mov_b32_e32 v17, 0
	s_waitcnt lgkmcnt(0)
	v_cmpx_gt_u64_e64 s[12:13], v[16:17]
	s_cbranch_execz .LBB0_2
; %bb.1:
	s_clause 0x1
	s_load_dwordx4 s[8:11], s[4:5], 0x18
	s_load_dwordx4 s[0:3], s[4:5], 0x0
	v_mul_lo_u16 v1, v1, 17
	s_load_dwordx2 s[4:5], s[4:5], 0x38
	v_sub_nc_u16 v2, v0, v1
	v_and_b32_e32 v44, 0xffff, v2
	v_lshlrev_b32_e32 v19, 2, v44
	s_waitcnt lgkmcnt(0)
	s_load_dwordx4 s[16:19], s[8:9], 0x0
	s_add_u32 s6, s0, 0x484
	s_addc_u32 s7, s1, 0
	s_waitcnt lgkmcnt(0)
	v_mad_u64_u32 v[0:1], null, s18, v16, 0
	v_mad_u64_u32 v[3:4], null, s16, v44, 0
	s_mul_i32 s8, s17, 0x44
	s_mul_hi_u32 s12, s16, 0x44
	s_mul_i32 s9, s16, 0x44
	s_add_i32 s8, s12, s8
	v_mad_u64_u32 v[5:6], null, s19, v16, v[1:2]
	v_mul_lo_u16 v2, v2, 17
	v_and_b32_e32 v2, 0xffff, v2
	v_mad_u64_u32 v[6:7], null, s17, v44, v[4:5]
	v_mov_b32_e32 v1, v5
	v_lshlrev_b64 v[0:1], 2, v[0:1]
	v_mov_b32_e32 v4, v6
	v_add_co_u32 v0, vcc_lo, s14, v0
	v_lshlrev_b64 v[3:4], 2, v[3:4]
	v_add_co_ci_u32_e32 v1, vcc_lo, s15, v1, vcc_lo
	v_add_co_u32 v0, vcc_lo, v0, v3
	v_add_co_ci_u32_e32 v1, vcc_lo, v1, v4, vcc_lo
	global_load_dword v5, v[0:1], off
	v_add_co_u32 v0, vcc_lo, v0, s9
	v_add_co_ci_u32_e32 v1, vcc_lo, s8, v1, vcc_lo
	s_clause 0x3
	global_load_dword v47, v19, s[0:1]
	global_load_dword v46, v19, s[0:1] offset:68
	global_load_dword v45, v19, s[0:1] offset:136
	global_load_dword v43, v19, s[0:1] offset:204
	v_add_co_u32 v3, vcc_lo, v0, s9
	v_add_co_ci_u32_e32 v4, vcc_lo, s8, v1, vcc_lo
	s_clause 0x1
	global_load_dword v6, v[0:1], off
	global_load_dword v7, v[3:4], off
	v_add_co_u32 v0, vcc_lo, v3, s9
	v_add_co_ci_u32_e32 v1, vcc_lo, s8, v4, vcc_lo
	v_add_co_u32 v3, vcc_lo, v0, s9
	v_add_co_ci_u32_e32 v4, vcc_lo, s8, v1, vcc_lo
	global_load_dword v8, v[0:1], off
	v_add_co_u32 v0, vcc_lo, v3, s9
	v_add_co_ci_u32_e32 v1, vcc_lo, s8, v4, vcc_lo
	global_load_dword v42, v19, s[0:1] offset:272
	global_load_dword v9, v[3:4], off
	global_load_dword v10, v[0:1], off
	v_add_co_u32 v0, vcc_lo, v0, s9
	v_add_co_ci_u32_e32 v1, vcc_lo, s8, v1, vcc_lo
	s_clause 0x2
	global_load_dword v41, v19, s[0:1] offset:340
	global_load_dword v40, v19, s[0:1] offset:408
	;; [unrolled: 1-line block ×3, first 2 shown]
	v_add_co_u32 v3, vcc_lo, v0, s9
	v_add_co_ci_u32_e32 v4, vcc_lo, s8, v1, vcc_lo
	global_load_dword v11, v[0:1], off
	v_add_co_u32 v0, vcc_lo, v3, s9
	v_add_co_ci_u32_e32 v1, vcc_lo, s8, v4, vcc_lo
	global_load_dword v12, v[3:4], off
	;; [unrolled: 3-line block ×3, first 2 shown]
	v_add_co_u32 v0, vcc_lo, v3, s9
	v_add_co_ci_u32_e32 v1, vcc_lo, s8, v4, vcc_lo
	s_clause 0x1
	global_load_dword v38, v19, s[0:1] offset:544
	global_load_dword v37, v19, s[0:1] offset:612
	global_load_dword v14, v[3:4], off
	global_load_dword v15, v[0:1], off
	v_add_co_u32 v0, vcc_lo, v0, s9
	v_add_co_ci_u32_e32 v1, vcc_lo, s8, v1, vcc_lo
	s_clause 0x3
	global_load_dword v36, v19, s[0:1] offset:680
	global_load_dword v35, v19, s[0:1] offset:748
	;; [unrolled: 1-line block ×4, first 2 shown]
	v_add_co_u32 v3, vcc_lo, v0, s9
	v_add_co_ci_u32_e32 v4, vcc_lo, s8, v1, vcc_lo
	global_load_dword v17, v[0:1], off
	v_add_co_u32 v0, vcc_lo, v3, s9
	v_add_co_ci_u32_e32 v1, vcc_lo, s8, v4, vcc_lo
	global_load_dword v18, v[3:4], off
	;; [unrolled: 3-line block ×4, first 2 shown]
	v_add_co_u32 v3, vcc_lo, v0, s9
	v_add_co_ci_u32_e32 v4, vcc_lo, s8, v1, vcc_lo
	global_load_dword v32, v19, s[0:1] offset:952
	global_load_dword v0, v[0:1], off
	global_load_dword v1, v[3:4], off
	s_clause 0x1
	global_load_dword v30, v19, s[0:1] offset:1020
	global_load_dword v29, v19, s[0:1] offset:1088
	v_mul_hi_u32 v3, 0x24924925, v16
	s_load_dwordx4 s[8:11], s[10:11], 0x0
	v_sub_nc_u32_e32 v4, v16, v3
	v_lshrrev_b32_e32 v4, 1, v4
	v_add_nc_u32_e32 v3, v4, v3
	v_lshrrev_b32_e32 v3, 2, v3
	v_mul_lo_u32 v3, v3, 7
	v_sub_nc_u32_e32 v3, v16, v3
	v_mul_u32_u24_e32 v3, 0x121, v3
	v_lshlrev_b32_e32 v3, 2, v3
	v_add_nc_u32_e32 v31, v19, v3
	v_lshl_add_u32 v48, v2, 2, v3
	s_waitcnt vmcnt(33)
	v_lshrrev_b32_e32 v4, 16, v5
	s_waitcnt vmcnt(32)
	v_mul_f16_sdwa v22, v47, v5 dst_sel:DWORD dst_unused:UNUSED_PAD src0_sel:WORD_1 src1_sel:DWORD
	v_mul_f16_sdwa v23, v47, v4 dst_sel:DWORD dst_unused:UNUSED_PAD src0_sel:WORD_1 src1_sel:DWORD
	v_fma_f16 v4, v47, v4, -v22
	s_waitcnt vmcnt(28)
	v_lshrrev_b32_e32 v24, 16, v6
	v_mul_f16_sdwa v25, v46, v6 dst_sel:DWORD dst_unused:UNUSED_PAD src0_sel:WORD_1 src1_sel:DWORD
	v_fmac_f16_e32 v23, v47, v5
	s_waitcnt vmcnt(27)
	v_lshrrev_b32_e32 v22, 16, v7
	v_mul_f16_sdwa v5, v46, v24 dst_sel:DWORD dst_unused:UNUSED_PAD src0_sel:WORD_1 src1_sel:DWORD
	v_fma_f16 v24, v46, v24, -v25
	v_mul_f16_sdwa v25, v45, v7 dst_sel:DWORD dst_unused:UNUSED_PAD src0_sel:WORD_1 src1_sel:DWORD
	v_pack_b32_f16 v4, v23, v4
	v_fmac_f16_e32 v5, v46, v6
	v_mul_f16_sdwa v6, v45, v22 dst_sel:DWORD dst_unused:UNUSED_PAD src0_sel:WORD_1 src1_sel:DWORD
	v_fma_f16 v22, v45, v22, -v25
	s_waitcnt vmcnt(26)
	v_lshrrev_b32_e32 v23, 16, v8
	v_mul_f16_sdwa v26, v43, v8 dst_sel:DWORD dst_unused:UNUSED_PAD src0_sel:WORD_1 src1_sel:DWORD
	v_pack_b32_f16 v5, v5, v24
	v_fmac_f16_e32 v6, v45, v7
	v_mul_f16_sdwa v7, v43, v23 dst_sel:DWORD dst_unused:UNUSED_PAD src0_sel:WORD_1 src1_sel:DWORD
	s_waitcnt vmcnt(24)
	v_lshrrev_b32_e32 v24, 16, v9
	v_fma_f16 v23, v43, v23, -v26
	v_mul_f16_sdwa v25, v42, v9 dst_sel:DWORD dst_unused:UNUSED_PAD src0_sel:WORD_1 src1_sel:DWORD
	ds_write2_b32 v31, v4, v5 offset1:17
	v_pack_b32_f16 v4, v6, v22
	v_fmac_f16_e32 v7, v43, v8
	v_mul_f16_sdwa v5, v42, v24 dst_sel:DWORD dst_unused:UNUSED_PAD src0_sel:WORD_1 src1_sel:DWORD
	s_waitcnt vmcnt(23)
	v_lshrrev_b32_e32 v6, 16, v10
	s_waitcnt vmcnt(22)
	v_mul_f16_sdwa v8, v41, v10 dst_sel:DWORD dst_unused:UNUSED_PAD src0_sel:WORD_1 src1_sel:DWORD
	v_fma_f16 v22, v42, v24, -v25
	v_pack_b32_f16 v7, v7, v23
	v_fmac_f16_e32 v5, v42, v9
	v_mul_f16_sdwa v9, v41, v6 dst_sel:DWORD dst_unused:UNUSED_PAD src0_sel:WORD_1 src1_sel:DWORD
	v_fma_f16 v6, v41, v6, -v8
	s_waitcnt vmcnt(19)
	v_lshrrev_b32_e32 v8, 16, v11
	v_mul_f16_sdwa v23, v40, v11 dst_sel:DWORD dst_unused:UNUSED_PAD src0_sel:WORD_1 src1_sel:DWORD
	ds_write2_b32 v31, v4, v7 offset0:34 offset1:51
	v_pack_b32_f16 v4, v5, v22
	v_fmac_f16_e32 v9, v41, v10
	v_mul_f16_sdwa v5, v40, v8 dst_sel:DWORD dst_unused:UNUSED_PAD src0_sel:WORD_1 src1_sel:DWORD
	s_waitcnt vmcnt(18)
	v_lshrrev_b32_e32 v7, 16, v12
	v_mul_f16_sdwa v10, v39, v12 dst_sel:DWORD dst_unused:UNUSED_PAD src0_sel:WORD_1 src1_sel:DWORD
	v_fma_f16 v8, v40, v8, -v23
	v_pack_b32_f16 v6, v9, v6
	v_fmac_f16_e32 v5, v40, v11
	v_mul_f16_sdwa v9, v39, v7 dst_sel:DWORD dst_unused:UNUSED_PAD src0_sel:WORD_1 src1_sel:DWORD
	v_fma_f16 v7, v39, v7, -v10
	s_waitcnt vmcnt(17)
	v_lshrrev_b32_e32 v10, 16, v13
	s_waitcnt vmcnt(16)
	v_mul_f16_sdwa v11, v38, v13 dst_sel:DWORD dst_unused:UNUSED_PAD src0_sel:WORD_1 src1_sel:DWORD
	ds_write2_b32 v31, v4, v6 offset0:68 offset1:85
	v_pack_b32_f16 v4, v5, v8
	v_fmac_f16_e32 v9, v39, v12
	v_mul_f16_sdwa v5, v38, v10 dst_sel:DWORD dst_unused:UNUSED_PAD src0_sel:WORD_1 src1_sel:DWORD
	s_waitcnt vmcnt(14)
	v_lshrrev_b32_e32 v6, 16, v14
	v_mul_f16_sdwa v8, v37, v14 dst_sel:DWORD dst_unused:UNUSED_PAD src0_sel:WORD_1 src1_sel:DWORD
	v_fma_f16 v10, v38, v10, -v11
	v_pack_b32_f16 v7, v9, v7
	v_fmac_f16_e32 v5, v38, v13
	v_mul_f16_sdwa v9, v37, v6 dst_sel:DWORD dst_unused:UNUSED_PAD src0_sel:WORD_1 src1_sel:DWORD
	v_fma_f16 v6, v37, v6, -v8
	s_waitcnt vmcnt(13)
	v_lshrrev_b32_e32 v8, 16, v15
	s_waitcnt vmcnt(12)
	v_mul_f16_sdwa v11, v36, v15 dst_sel:DWORD dst_unused:UNUSED_PAD src0_sel:WORD_1 src1_sel:DWORD
	ds_write2_b32 v31, v4, v7 offset0:102 offset1:119
	v_pack_b32_f16 v4, v5, v10
	v_fmac_f16_e32 v9, v37, v14
	v_mul_f16_sdwa v5, v36, v8 dst_sel:DWORD dst_unused:UNUSED_PAD src0_sel:WORD_1 src1_sel:DWORD
	s_waitcnt vmcnt(8)
	v_lshrrev_b32_e32 v7, 16, v17
	v_mul_f16_sdwa v10, v35, v17 dst_sel:DWORD dst_unused:UNUSED_PAD src0_sel:WORD_1 src1_sel:DWORD
	v_fma_f16 v8, v36, v8, -v11
	v_pack_b32_f16 v6, v9, v6
	v_fmac_f16_e32 v5, v36, v15
	v_mul_f16_sdwa v9, v35, v7 dst_sel:DWORD dst_unused:UNUSED_PAD src0_sel:WORD_1 src1_sel:DWORD
	v_fma_f16 v7, v35, v7, -v10
	s_waitcnt vmcnt(7)
	v_lshrrev_b32_e32 v10, 16, v18
	v_mul_f16_sdwa v11, v34, v18 dst_sel:DWORD dst_unused:UNUSED_PAD src0_sel:WORD_1 src1_sel:DWORD
	v_pack_b32_f16 v5, v5, v8
	v_fmac_f16_e32 v9, v35, v17
	s_waitcnt vmcnt(6)
	v_lshrrev_b32_e32 v8, 16, v20
	v_mul_f16_sdwa v12, v34, v10 dst_sel:DWORD dst_unused:UNUSED_PAD src0_sel:WORD_1 src1_sel:DWORD
	v_fma_f16 v10, v34, v10, -v11
	v_mul_f16_sdwa v11, v33, v20 dst_sel:DWORD dst_unused:UNUSED_PAD src0_sel:WORD_1 src1_sel:DWORD
	v_pack_b32_f16 v7, v9, v7
	v_mul_f16_sdwa v9, v33, v8 dst_sel:DWORD dst_unused:UNUSED_PAD src0_sel:WORD_1 src1_sel:DWORD
	s_waitcnt vmcnt(5)
	v_lshrrev_b32_e32 v13, 16, v21
	s_waitcnt vmcnt(3)
	v_lshrrev_b32_e32 v14, 16, v0
	v_fma_f16 v8, v33, v8, -v11
	v_mul_f16_sdwa v11, v32, v21 dst_sel:DWORD dst_unused:UNUSED_PAD src0_sel:WORD_1 src1_sel:DWORD
	s_waitcnt vmcnt(2)
	v_lshrrev_b32_e32 v17, 16, v1
	v_fmac_f16_e32 v12, v34, v18
	v_mul_f16_sdwa v15, v32, v13 dst_sel:DWORD dst_unused:UNUSED_PAD src0_sel:WORD_1 src1_sel:DWORD
	s_waitcnt vmcnt(1)
	v_mul_f16_sdwa v18, v30, v14 dst_sel:DWORD dst_unused:UNUSED_PAD src0_sel:WORD_1 src1_sel:DWORD
	v_fma_f16 v11, v32, v13, -v11
	v_mul_f16_sdwa v13, v30, v0 dst_sel:DWORD dst_unused:UNUSED_PAD src0_sel:WORD_1 src1_sel:DWORD
	v_fmac_f16_e32 v9, v33, v20
	s_waitcnt vmcnt(0)
	v_mul_f16_sdwa v20, v29, v1 dst_sel:DWORD dst_unused:UNUSED_PAD src0_sel:WORD_1 src1_sel:DWORD
	v_mul_f16_sdwa v22, v29, v17 dst_sel:DWORD dst_unused:UNUSED_PAD src0_sel:WORD_1 src1_sel:DWORD
	v_fmac_f16_e32 v15, v32, v21
	v_fma_f16 v13, v30, v14, -v13
	v_fmac_f16_e32 v18, v30, v0
	v_fma_f16 v0, v29, v17, -v20
	v_fmac_f16_e32 v22, v29, v1
	v_pack_b32_f16 v1, v12, v10
	v_pack_b32_f16 v8, v9, v8
	;; [unrolled: 1-line block ×5, first 2 shown]
	ds_write2_b32 v31, v4, v6 offset0:136 offset1:153
	ds_write2_b32 v31, v5, v7 offset0:170 offset1:187
	;; [unrolled: 1-line block ×4, first 2 shown]
	ds_write_b32 v31, v0 offset:1088
	s_waitcnt lgkmcnt(0)
	s_barrier
	buffer_gl0_inv
	ds_read2_b32 v[0:1], v31 offset1:17
	ds_read_b32 v17, v31 offset:1088
	ds_read2_b32 v[10:11], v31 offset0:102 offset1:119
	ds_read2_b32 v[6:7], v31 offset0:170 offset1:187
	;; [unrolled: 1-line block ×7, first 2 shown]
	s_waitcnt lgkmcnt(0)
	s_barrier
	buffer_gl0_inv
	v_add_f16_e32 v65, v1, v0
	v_sub_f16_sdwa v63, v1, v17 dst_sel:DWORD dst_unused:UNUSED_PAD src0_sel:WORD_1 src1_sel:WORD_1
	v_sub_f16_e32 v64, v1, v17
	v_add_f16_sdwa v66, v1, v0 dst_sel:DWORD dst_unused:UNUSED_PAD src0_sel:WORD_1 src1_sel:WORD_1
	v_add_f16_e32 v61, v17, v1
	v_add_f16_sdwa v62, v17, v1 dst_sel:DWORD dst_unused:UNUSED_PAD src0_sel:WORD_1 src1_sel:WORD_1
	v_add_f16_e32 v67, v3, v14
	v_add_f16_sdwa v60, v3, v14 dst_sel:DWORD dst_unused:UNUSED_PAD src0_sel:WORD_1 src1_sel:WORD_1
	v_sub_f16_e32 v68, v14, v3
	v_sub_f16_sdwa v69, v14, v3 dst_sel:DWORD dst_unused:UNUSED_PAD src0_sel:WORD_1 src1_sel:WORD_1
	v_mul_f16_e32 v72, 0xb5c8, v63
	v_mul_f16_e32 v73, 0xb5c8, v64
	;; [unrolled: 1-line block ×14, first 2 shown]
	v_add_f16_e32 v65, v65, v14
	v_add_f16_sdwa v14, v66, v14 dst_sel:DWORD dst_unused:UNUSED_PAD src0_sel:DWORD src1_sel:WORD_1
	v_pack_b32_f16 v63, v62, v63
	v_pack_b32_f16 v64, v64, v61
	v_fma_f16 v121, v61, 0x3b76, -v72
	v_fmamk_f16 v122, v62, 0x3b76, v73
	v_fmac_f16_e32 v72, 0x3b76, v61
	v_fma_f16 v73, v62, 0x3b76, -v73
	v_fma_f16 v123, v61, 0x39e9, -v74
	v_fmamk_f16 v124, v62, 0x39e9, v75
	v_fmac_f16_e32 v74, 0x39e9, v61
	v_fma_f16 v75, v62, 0x39e9, -v75
	;; [unrolled: 4-line block ×7, first 2 shown]
	v_add_f16_e32 v62, v65, v15
	v_add_f16_sdwa v14, v14, v15 dst_sel:DWORD dst_unused:UNUSED_PAD src0_sel:DWORD src1_sel:WORD_1
	v_add_f16_e32 v55, v5, v12
	v_add_f16_sdwa v54, v5, v12 dst_sel:DWORD dst_unused:UNUSED_PAD src0_sel:WORD_1 src1_sel:WORD_1
	v_sub_f16_e32 v57, v12, v5
	v_sub_f16_sdwa v56, v12, v5 dst_sel:DWORD dst_unused:UNUSED_PAD src0_sel:WORD_1 src1_sel:WORD_1
	v_mul_f16_e32 v66, 0xb964, v69
	v_mul_f16_e32 v86, 0xbbf7, v69
	;; [unrolled: 1-line block ×7, first 2 shown]
	v_pack_b32_f16 v92, v68, v67
	v_mul_f16_e32 v93, 0xb964, v68
	v_mul_f16_e32 v94, 0xbbf7, v68
	;; [unrolled: 1-line block ×7, first 2 shown]
	v_add_f16_e32 v62, v62, v12
	v_add_f16_sdwa v12, v14, v12 dst_sel:DWORD dst_unused:UNUSED_PAD src0_sel:DWORD src1_sel:WORD_1
	v_add_f16_e32 v59, v2, v15
	v_add_f16_sdwa v58, v2, v15 dst_sel:DWORD dst_unused:UNUSED_PAD src0_sel:WORD_1 src1_sel:WORD_1
	v_sub_f16_e32 v70, v15, v2
	v_sub_f16_sdwa v71, v15, v2 dst_sel:DWORD dst_unused:UNUSED_PAD src0_sel:WORD_1 src1_sel:WORD_1
	v_pack_b32_f16 v69, v60, v69
	v_fma_f16 v15, v67, 0x39e9, -v66
	v_fmac_f16_e32 v66, 0x39e9, v67
	v_fma_f16 v65, v67, 0x2de8, -v86
	v_fmac_f16_e32 v86, 0x2de8, v67
	;; [unrolled: 2-line block ×7, first 2 shown]
	v_fmamk_f16 v67, v60, 0x39e9, v93
	v_fma_f16 v93, v60, 0x39e9, -v93
	v_fmamk_f16 v139, v60, 0x2de8, v94
	v_fma_f16 v94, v60, 0x2de8, -v94
	;; [unrolled: 2-line block ×7, first 2 shown]
	v_add_f16_sdwa v61, v61, v0 dst_sel:DWORD dst_unused:UNUSED_PAD src0_sel:DWORD src1_sel:WORD_1
	v_add_f16_e32 v62, v62, v13
	v_add_f16_sdwa v12, v12, v13 dst_sel:DWORD dst_unused:UNUSED_PAD src0_sel:DWORD src1_sel:WORD_1
	v_add_f16_e32 v24, v7, v10
	v_add_f16_sdwa v23, v7, v10 dst_sel:DWORD dst_unused:UNUSED_PAD src0_sel:WORD_1 src1_sel:WORD_1
	v_sub_f16_e32 v27, v10, v7
	v_sub_f16_sdwa v26, v10, v7 dst_sel:DWORD dst_unused:UNUSED_PAD src0_sel:WORD_1 src1_sel:WORD_1
	v_add_f16_e32 v60, v60, v61
	v_add_f16_e32 v61, v62, v10
	v_add_f16_sdwa v10, v12, v10 dst_sel:DWORD dst_unused:UNUSED_PAD src0_sel:DWORD src1_sel:WORD_1
	v_add_f16_e32 v1, v9, v8
	v_add_f16_sdwa v25, v9, v8 dst_sel:DWORD dst_unused:UNUSED_PAD src0_sel:WORD_1 src1_sel:WORD_1
	v_sub_f16_e32 v28, v8, v9
	v_add_f16_e32 v61, v61, v11
	v_add_f16_sdwa v10, v10, v11 dst_sel:DWORD dst_unused:UNUSED_PAD src0_sel:DWORD src1_sel:WORD_1
	v_sub_f16_sdwa v49, v8, v9 dst_sel:DWORD dst_unused:UNUSED_PAD src0_sel:WORD_1 src1_sel:WORD_1
	v_add_f16_e32 v20, v6, v11
	v_add_f16_sdwa v18, v6, v11 dst_sel:DWORD dst_unused:UNUSED_PAD src0_sel:WORD_1 src1_sel:WORD_1
	v_add_f16_e32 v61, v61, v8
	v_add_f16_sdwa v8, v10, v8 dst_sel:DWORD dst_unused:UNUSED_PAD src0_sel:DWORD src1_sel:WORD_1
	v_sub_f16_e32 v22, v11, v6
	v_sub_f16_sdwa v21, v11, v6 dst_sel:DWORD dst_unused:UNUSED_PAD src0_sel:WORD_1 src1_sel:WORD_1
	v_mul_f16_e32 v99, 0xbb29, v71
	v_add_f16_e32 v61, v61, v9
	v_add_f16_sdwa v8, v8, v9 dst_sel:DWORD dst_unused:UNUSED_PAD src0_sel:DWORD src1_sel:WORD_1
	v_mul_f16_e32 v100, 0xba62, v71
	v_mul_f16_e32 v101, 0x31e1, v71
	v_mul_f16_e32 v102, 0x3bb2, v71
	v_mul_f16_e32 v103, 0x3964, v71
	v_mul_f16_e32 v104, 0xb5c8, v71
	v_mul_f16_e32 v105, 0xbbf7, v71
	v_pack_b32_f16 v106, v70, v59
	v_mul_f16_e32 v107, 0xbb29, v70
	v_mul_f16_e32 v108, 0xba62, v70
	;; [unrolled: 1-line block ×7, first 2 shown]
	v_pk_mul_f16 v64, 0xbbddb1e1, v64
	v_add_f16_e32 v61, v61, v6
	v_add_f16_sdwa v6, v8, v6 dst_sel:DWORD dst_unused:UNUSED_PAD src0_sel:DWORD src1_sel:WORD_1
	v_pack_b32_f16 v71, v58, v71
	v_fma_f16 v68, v59, 0x3722, -v99
	v_fmac_f16_e32 v99, 0x3722, v59
	v_fma_f16 v145, v59, 0xb8d2, -v100
	v_fmac_f16_e32 v100, 0xb8d2, v59
	;; [unrolled: 2-line block ×7, first 2 shown]
	v_fmamk_f16 v59, v58, 0x3722, v107
	v_fma_f16 v107, v58, 0x3722, -v107
	v_fmamk_f16 v151, v58, 0xb8d2, v108
	v_fma_f16 v108, v58, 0xb8d2, -v108
	;; [unrolled: 2-line block ×7, first 2 shown]
	v_pk_mul_f16 v70, 0x3b7635c8, v92
	v_pk_mul_f16 v92, 0xbacdb836, v106
	v_pk_fma_f16 v163, 0xb1e1bbdd, v63, v64 neg_lo:[0,1,0] neg_hi:[0,1,0]
	v_pk_fma_f16 v164, 0xb1e1bbdd, v63, v64
	v_pk_fma_f16 v63, 0xb1e1bbdd, v63, v64 neg_lo:[0,0,1] neg_hi:[0,0,1]
	v_add_f16_e32 v61, v61, v7
	v_add_f16_sdwa v6, v6, v7 dst_sel:DWORD dst_unused:UNUSED_PAD src0_sel:DWORD src1_sel:WORD_1
	v_add_f16_e32 v51, v4, v13
	v_add_f16_sdwa v50, v4, v13 dst_sel:DWORD dst_unused:UNUSED_PAD src0_sel:WORD_1 src1_sel:WORD_1
	v_sub_f16_e32 v53, v13, v4
	v_sub_f16_sdwa v52, v13, v4 dst_sel:DWORD dst_unused:UNUSED_PAD src0_sel:WORD_1 src1_sel:WORD_1
	v_add_f16_e32 v64, v121, v0
	v_add_f16_sdwa v121, v122, v0 dst_sel:DWORD dst_unused:UNUSED_PAD src0_sel:DWORD src1_sel:WORD_1
	v_add_f16_e32 v72, v72, v0
	v_add_f16_sdwa v73, v73, v0 dst_sel:DWORD dst_unused:UNUSED_PAD src0_sel:DWORD src1_sel:WORD_1
	;; [unrolled: 2-line block ×13, first 2 shown]
	v_add_f16_e32 v84, v84, v0
	v_pk_fma_f16 v14, 0x35c83b76, v69, v70 neg_lo:[0,1,0] neg_hi:[0,1,0]
	v_pk_fma_f16 v134, 0x35c83b76, v69, v70
	v_pk_fma_f16 v69, 0x35c83b76, v69, v70 neg_lo:[0,0,1] neg_hi:[0,0,1]
	v_pk_fma_f16 v70, 0xb836bacd, v71, v92 neg_lo:[0,1,0] neg_hi:[0,1,0]
	v_pk_fma_f16 v165, 0xb836bacd, v71, v92
	v_pk_fma_f16 v71, 0xb836bacd, v71, v92 neg_lo:[0,0,1] neg_hi:[0,0,1]
	v_pk_add_f16 v92, v163, v0 op_sel:[0,1] op_sel_hi:[1,0]
	v_pk_add_f16 v163, v164, v0 op_sel:[0,1] op_sel_hi:[1,0]
	;; [unrolled: 1-line block ×3, first 2 shown]
	v_add_f16_e32 v61, v61, v4
	v_add_f16_sdwa v4, v6, v4 dst_sel:DWORD dst_unused:UNUSED_PAD src0_sel:DWORD src1_sel:WORD_1
	v_add_f16_e32 v6, v58, v60
	v_mul_f16_e32 v116, 0xb1e1, v57
	v_pk_add_f16 v0, v69, v0
	v_add_f16_e32 v58, v61, v5
	v_add_f16_sdwa v4, v4, v5 dst_sel:DWORD dst_unused:UNUSED_PAD src0_sel:DWORD src1_sel:WORD_1
	v_mul_f16_e32 v117, 0x3bb2, v56
	v_add_f16_e32 v13, v15, v64
	v_pk_add_f16 v5, v71, v0
	v_add_f16_e32 v0, v58, v2
	v_add_f16_sdwa v2, v4, v2 dst_sel:DWORD dst_unused:UNUSED_PAD src0_sel:DWORD src1_sel:WORD_1
	v_add_f16_e32 v15, v67, v121
	v_add_f16_e32 v63, v66, v72
	;; [unrolled: 1-line block ×4, first 2 shown]
	v_add_f16_sdwa v2, v2, v3 dst_sel:DWORD dst_unused:UNUSED_PAD src0_sel:DWORD src1_sel:WORD_1
	v_add_f16_e32 v65, v65, v122
	v_add_f16_e32 v66, v139, v123
	;; [unrolled: 1-line block ×6, first 2 shown]
	v_add_f16_sdwa v2, v2, v17 dst_sel:WORD_1 dst_unused:UNUSED_PAD src0_sel:DWORD src1_sel:WORD_1
	v_mul_f16_e32 v114, 0xbbf7, v57
	v_mul_f16_e32 v115, 0xb1e1, v56
	;; [unrolled: 1-line block ×4, first 2 shown]
	v_fmamk_f16 v159, v54, 0xbbdd, v116
	v_fma_f16 v116, v54, 0xbbdd, -v116
	v_fma_f16 v160, v55, 0xb461, -v117
	v_add_f16_e32 v74, v140, v125
	v_add_f16_e32 v75, v87, v76
	;; [unrolled: 1-line block ×12, first 2 shown]
	v_or_b32_sdwa v0, v2, v0 dst_sel:DWORD dst_unused:UNUSED_PAD src0_sel:DWORD src1_sel:WORD_0
	v_mul_f16_e32 v2, 0xbb29, v56
	v_fmamk_f16 v157, v54, 0x2de8, v114
	v_fma_f16 v114, v54, 0x2de8, -v114
	v_fma_f16 v158, v55, 0xbbdd, -v115
	v_fmac_f16_e32 v115, 0xbbdd, v55
	v_fmamk_f16 v161, v54, 0xb461, v118
	v_add_f16_e32 v76, v95, v77
	v_add_f16_e32 v85, v141, v127
	v_add_f16_e32 v13, v68, v13
	v_add_f16_e32 v68, v152, v74
	v_add_f16_e32 v69, v101, v75
	v_add_f16_e32 v10, v110, v79
	v_add_f16_e32 v75, v148, v86
	v_add_f16_e32 v61, v116, v66
	v_add_f16_e32 v17, v160, v67
	v_fma_f16 v66, v54, 0x3b76, -v120
	v_fma_f16 v67, v55, 0x3722, -v2
	;; [unrolled: 1-line block ×3, first 2 shown]
	v_add_f16_e32 v77, v135, v126
	v_add_f16_e32 v78, v88, v78
	;; [unrolled: 1-line block ×6, first 2 shown]
	v_pk_add_f16 v12, v14, v92
	v_add_f16_e32 v72, v109, v76
	v_add_f16_e32 v73, v153, v85
	;; [unrolled: 1-line block ×5, first 2 shown]
	v_fmamk_f16 v65, v54, 0x3b76, v120
	v_mul_f16_e32 v68, 0xbb29, v57
	v_add_f16_e32 v10, v66, v10
	v_add_f16_e32 v66, v67, v75
	v_mul_f16_e32 v67, 0xb836, v56
	v_mul_f16_e32 v71, 0xb836, v57
	v_mul_f16_e32 v113, 0xbbf7, v56
	v_mul_f16_e32 v119, 0x35c8, v56
	v_add_f16_e32 v11, v147, v77
	v_add_f16_e32 v74, v102, v78
	;; [unrolled: 1-line block ×6, first 2 shown]
	v_pk_add_f16 v12, v70, v12
	v_add_f16_e32 v3, v159, v64
	v_add_f16_e32 v64, v118, v72
	;; [unrolled: 1-line block ×3, first 2 shown]
	v_fmamk_f16 v70, v54, 0x3722, v68
	v_fmac_f16_e32 v2, 0x3722, v55
	v_fma_f16 v68, v54, 0x3722, -v68
	v_fma_f16 v72, v55, 0xbacd, -v67
	v_fmamk_f16 v73, v54, 0xbacd, v71
	v_fma_f16 v106, v55, 0x2de8, -v113
	v_fmac_f16_e32 v113, 0x2de8, v55
	v_fmac_f16_e32 v117, 0xb461, v55
	v_fma_f16 v162, v55, 0x3b76, -v119
	v_add_f16_e32 v82, v90, v82
	v_add_f16_e32 v90, v138, v132
	v_fmac_f16_e32 v119, 0x3b76, v55
	v_add_f16_e32 v2, v2, v9
	v_add_f16_e32 v9, v68, v77
	;; [unrolled: 1-line block ×4, first 2 shown]
	v_mul_f16_e32 v72, 0x3a62, v56
	v_mul_f16_e32 v73, 0x3a62, v57
	v_pack_b32_f16 v57, v57, v55
	v_pk_add_f16 v14, v134, v163
	v_add_f16_e32 v7, v150, v90
	v_add_f16_e32 v4, v113, v59
	;; [unrolled: 1-line block ×5, first 2 shown]
	v_fma_f16 v71, v54, 0xbacd, -v71
	v_fma_f16 v74, v55, 0xb8d2, -v72
	v_fmamk_f16 v75, v54, 0xb8d2, v73
	v_pack_b32_f16 v56, v54, v56
	v_pk_mul_f16 v57, 0x39e93964, v57
	v_fma_f16 v54, v54, 0xb8d2, -v73
	v_pk_add_f16 v14, v165, v14
	v_add_f16_e32 v7, v74, v7
	v_add_f16_e32 v13, v106, v13
	v_pk_fma_f16 v73, 0x396439e9, v56, v57 neg_lo:[0,1,0] neg_hi:[0,1,0]
	v_pk_fma_f16 v74, 0x396439e9, v56, v57
	v_pk_fma_f16 v56, 0x396439e9, v56, v57 neg_lo:[0,0,1] neg_hi:[0,0,1]
	v_mul_f16_e32 v57, 0xbbb2, v52
	v_add_f16_e32 v6, v54, v6
	v_mul_f16_e32 v54, 0xbbb2, v53
	v_add_f16_e32 v15, v157, v15
	v_pk_add_f16 v12, v73, v12
	v_fma_f16 v73, v51, 0xb461, -v57
	v_pk_add_f16 v14, v74, v14
	v_pk_add_f16 v5, v56, v5
	v_mul_f16_e32 v56, 0x3836, v52
	v_fmamk_f16 v74, v50, 0xb461, v54
	v_add_f16_e32 v13, v73, v13
	v_fmac_f16_e32 v57, 0xb461, v51
	v_add_f16_e32 v93, v144, v133
	v_fma_f16 v73, v51, 0xbacd, -v56
	v_add_f16_e32 v15, v74, v15
	v_mul_f16_e32 v74, 0x3836, v53
	v_fma_f16 v54, v50, 0xb461, -v54
	v_add_f16_e32 v4, v57, v4
	v_add_f16_e32 v57, v73, v59
	v_fmac_f16_e32 v56, 0xbacd, v51
	v_fmamk_f16 v59, v50, 0xbacd, v74
	v_fma_f16 v73, v50, 0xbacd, -v74
	v_mul_f16_e32 v74, 0x3964, v53
	v_add_f16_e32 v81, v156, v93
	v_add_f16_e32 v54, v54, v58
	v_mul_f16_e32 v58, 0x3964, v52
	v_add_f16_e32 v56, v56, v60
	v_fmamk_f16 v60, v50, 0x39e9, v74
	v_fmac_f16_e32 v67, 0xbacd, v55
	v_fmac_f16_e32 v72, 0xb8d2, v55
	v_add_f16_e32 v55, v75, v81
	v_fma_f16 v75, v51, 0x39e9, -v58
	v_add_f16_e32 v3, v59, v3
	v_add_f16_e32 v59, v73, v61
	v_mul_f16_e32 v61, 0xbb29, v52
	v_fmac_f16_e32 v58, 0x39e9, v51
	v_fma_f16 v73, v50, 0x39e9, -v74
	v_add_f16_e32 v60, v60, v62
	v_mul_f16_e32 v62, 0xbb29, v53
	v_add_f16_e32 v87, v142, v129
	v_add_f16_e32 v11, v162, v11
	v_fma_f16 v74, v51, 0x3722, -v61
	v_add_f16_e32 v58, v58, v63
	v_add_f16_e32 v63, v73, v64
	v_mul_f16_e32 v64, 0xb1e1, v52
	v_fmamk_f16 v73, v50, 0x3722, v62
	v_add_f16_e32 v76, v154, v87
	v_add_f16_e32 v11, v74, v11
	v_fmac_f16_e32 v61, 0x3722, v51
	v_fma_f16 v62, v50, 0x3722, -v62
	v_fma_f16 v74, v51, 0xbbdd, -v64
	v_add_f16_e32 v65, v73, v65
	v_mul_f16_e32 v73, 0xb1e1, v53
	v_add_f16_e32 v83, v98, v83
	v_add_f16_e32 v70, v70, v76
	;; [unrolled: 1-line block ×5, first 2 shown]
	v_mul_f16_e32 v66, 0x3bf7, v52
	v_fmamk_f16 v69, v50, 0xbbdd, v73
	v_mul_f16_e32 v74, 0x3bf7, v53
	v_add_f16_e32 v79, v104, v82
	v_add_f16_e32 v80, v112, v83
	;; [unrolled: 1-line block ×3, first 2 shown]
	v_fmac_f16_e32 v64, 0xbbdd, v51
	v_fma_f16 v73, v50, 0xbbdd, -v73
	v_fma_f16 v75, v51, 0x2de8, -v66
	v_add_f16_e32 v69, v69, v70
	v_fmamk_f16 v70, v50, 0x2de8, v74
	v_add_f16_e32 v67, v67, v79
	v_add_f16_e32 v71, v71, v80
	;; [unrolled: 1-line block ×5, first 2 shown]
	v_fmac_f16_e32 v66, 0x2de8, v51
	v_add_f16_e32 v8, v70, v8
	v_mul_f16_e32 v68, 0xb5c8, v52
	v_fma_f16 v70, v50, 0x2de8, -v74
	v_mul_f16_e32 v73, 0xb5c8, v53
	v_pack_b32_f16 v53, v53, v51
	v_add_f16_e32 v66, v66, v67
	v_fma_f16 v67, v51, 0x3b76, -v68
	v_add_f16_e32 v70, v70, v71
	v_fmamk_f16 v71, v50, 0x3b76, v73
	v_pack_b32_f16 v52, v50, v52
	v_pk_mul_f16 v53, 0xb8d2ba62, v53
	v_fma_f16 v50, v50, 0x3b76, -v73
	v_add_f16_e32 v7, v67, v7
	v_fmac_f16_e32 v68, 0x3b76, v51
	v_add_f16_e32 v51, v71, v55
	v_pk_fma_f16 v55, 0xba62b8d2, v52, v53 neg_lo:[0,1,0] neg_hi:[0,1,0]
	v_pk_fma_f16 v67, 0xba62b8d2, v52, v53
	v_pk_fma_f16 v52, 0xba62b8d2, v52, v53 neg_lo:[0,0,1] neg_hi:[0,0,1]
	v_mul_f16_e32 v53, 0xba62, v26
	v_add_f16_e32 v6, v50, v6
	v_mul_f16_e32 v50, 0xba62, v27
	v_pk_add_f16 v12, v55, v12
	v_pk_add_f16 v14, v67, v14
	v_fma_f16 v55, v24, 0xb8d2, -v53
	v_pk_add_f16 v5, v52, v5
	v_mul_f16_e32 v52, 0x3bb2, v26
	v_fmamk_f16 v67, v23, 0xb8d2, v50
	v_fmac_f16_e32 v53, 0xb8d2, v24
	v_add_f16_e32 v13, v55, v13
	v_fma_f16 v50, v23, 0xb8d2, -v50
	v_fma_f16 v55, v24, 0xb461, -v52
	v_add_f16_e32 v15, v67, v15
	v_mul_f16_e32 v67, 0x3bb2, v27
	v_add_f16_e32 v4, v53, v4
	v_fmac_f16_e32 v52, 0xb461, v24
	v_add_f16_e32 v53, v55, v57
	v_add_f16_e32 v50, v50, v54
	v_fmamk_f16 v55, v23, 0xb461, v67
	v_fma_f16 v57, v23, 0xb461, -v67
	v_mul_f16_e32 v67, 0xb5c8, v27
	v_mul_f16_e32 v54, 0xb5c8, v26
	v_add_f16_e32 v52, v52, v56
	v_add_f16_e32 v3, v55, v3
	;; [unrolled: 1-line block ×3, first 2 shown]
	v_fmamk_f16 v56, v23, 0x3b76, v67
	v_fma_f16 v71, v24, 0x3b76, -v54
	v_mul_f16_e32 v57, 0xb836, v26
	v_fmac_f16_e32 v54, 0x3b76, v24
	v_fma_f16 v59, v23, 0x3b76, -v67
	v_add_f16_e32 v56, v56, v60
	v_mul_f16_e32 v60, 0xb836, v27
	v_fma_f16 v67, v24, 0xbacd, -v57
	v_add_f16_e32 v54, v54, v58
	v_add_f16_e32 v58, v59, v63
	v_mul_f16_e32 v59, 0x3bf7, v26
	v_fmamk_f16 v63, v23, 0xbacd, v60
	v_fmac_f16_e32 v57, 0xbacd, v24
	v_add_f16_e32 v11, v67, v11
	v_fma_f16 v60, v23, 0xbacd, -v60
	v_fma_f16 v67, v24, 0x2de8, -v59
	v_add_f16_e32 v63, v63, v65
	v_mul_f16_e32 v65, 0x3bf7, v27
	v_add_f16_e32 v57, v57, v61
	v_mul_f16_e32 v61, 0xb964, v26
	v_add_f16_e32 v17, v71, v17
	v_add_f16_e32 v10, v60, v10
	;; [unrolled: 1-line block ×3, first 2 shown]
	v_fmamk_f16 v62, v23, 0x2de8, v65
	v_mul_f16_e32 v67, 0xb964, v27
	v_fmac_f16_e32 v59, 0x2de8, v24
	v_fma_f16 v65, v23, 0x2de8, -v65
	v_fma_f16 v71, v24, 0x39e9, -v61
	v_add_f16_e32 v62, v62, v69
	v_fmamk_f16 v69, v23, 0x39e9, v67
	v_add_f16_e32 v2, v59, v2
	v_add_f16_e32 v9, v65, v9
	;; [unrolled: 1-line block ×3, first 2 shown]
	v_fmac_f16_e32 v61, 0x39e9, v24
	v_mul_f16_e32 v64, 0xb1e1, v26
	v_fma_f16 v65, v23, 0x39e9, -v67
	v_mul_f16_e32 v67, 0xb1e1, v27
	v_pack_b32_f16 v27, v27, v24
	v_add_f16_e32 v8, v69, v8
	v_add_f16_e32 v61, v61, v66
	v_fma_f16 v66, v24, 0xbbdd, -v64
	v_fmamk_f16 v69, v23, 0xbbdd, v67
	v_pack_b32_f16 v26, v23, v26
	v_pk_mul_f16 v27, 0x37223b29, v27
	v_fma_f16 v23, v23, 0xbbdd, -v67
	v_add_f16_e32 v7, v66, v7
	v_fmac_f16_e32 v64, 0xbbdd, v24
	v_add_f16_e32 v24, v69, v51
	v_pk_fma_f16 v51, 0x3b293722, v26, v27 neg_lo:[0,1,0] neg_hi:[0,1,0]
	v_pk_fma_f16 v66, 0x3b293722, v26, v27
	v_pk_fma_f16 v26, 0x3b293722, v26, v27 neg_lo:[0,0,1] neg_hi:[0,0,1]
	v_mul_f16_e32 v27, 0xb836, v21
	v_add_f16_e32 v6, v23, v6
	v_mul_f16_e32 v23, 0xb836, v22
	v_pk_add_f16 v12, v51, v12
	v_pk_add_f16 v14, v66, v14
	v_fma_f16 v51, v20, 0xbacd, -v27
	v_pk_add_f16 v5, v26, v5
	v_mul_f16_e32 v26, 0x3b29, v21
	v_fmamk_f16 v66, v18, 0xbacd, v23
	v_fmac_f16_e32 v27, 0xbacd, v20
	v_add_f16_e32 v13, v51, v13
	v_fma_f16 v23, v18, 0xbacd, -v23
	v_fma_f16 v51, v20, 0x3722, -v26
	v_add_f16_e32 v15, v66, v15
	v_mul_f16_e32 v66, 0x3b29, v22
	v_add_f16_e32 v4, v27, v4
	v_fmac_f16_e32 v26, 0x3722, v20
	v_add_f16_e32 v27, v51, v53
	v_add_f16_e32 v23, v23, v50
	v_fmamk_f16 v51, v18, 0x3722, v66
	v_fma_f16 v53, v18, 0x3722, -v66
	v_mul_f16_e32 v66, 0xbbf7, v22
	v_mul_f16_e32 v50, 0xbbf7, v21
	v_add_f16_e32 v26, v26, v52
	v_add_f16_e32 v3, v51, v3
	;; [unrolled: 1-line block ×3, first 2 shown]
	v_fmamk_f16 v52, v18, 0x2de8, v66
	v_fma_f16 v67, v20, 0x2de8, -v50
	v_mul_f16_e32 v53, 0x3a62, v21
	v_fmac_f16_e32 v50, 0x2de8, v20
	v_fma_f16 v55, v18, 0x2de8, -v66
	v_add_f16_e32 v52, v52, v56
	v_mul_f16_e32 v56, 0x3a62, v22
	v_fma_f16 v66, v20, 0xb8d2, -v53
	v_add_f16_e32 v50, v50, v54
	v_add_f16_e32 v54, v55, v58
	v_mul_f16_e32 v55, 0xb5c8, v21
	v_fmamk_f16 v58, v18, 0xb8d2, v56
	v_add_f16_e32 v11, v66, v11
	v_fmac_f16_e32 v53, 0xb8d2, v20
	v_fma_f16 v56, v18, 0xb8d2, -v56
	v_fma_f16 v66, v20, 0x3b76, -v55
	v_add_f16_e32 v58, v58, v63
	v_mul_f16_e32 v63, 0xb5c8, v22
	v_add_f16_e32 v53, v53, v57
	v_add_f16_e32 v10, v56, v10
	;; [unrolled: 1-line block ×3, first 2 shown]
	v_mul_f16_e32 v57, 0xb1e1, v21
	v_fmamk_f16 v60, v18, 0x3b76, v63
	v_mul_f16_e32 v66, 0xb1e1, v22
	v_add_f16_e32 v84, v91, v84
	v_add_f16_e32 v17, v67, v17
	v_fmac_f16_e32 v55, 0x3b76, v20
	v_fma_f16 v63, v18, 0x3b76, -v63
	v_fma_f16 v67, v20, 0xbbdd, -v57
	v_add_f16_e32 v60, v60, v62
	v_fmamk_f16 v62, v18, 0xbbdd, v66
	v_add_f16_e32 v82, v105, v84
	v_add_f16_e32 v65, v65, v70
	;; [unrolled: 1-line block ×5, first 2 shown]
	v_fmac_f16_e32 v57, 0xbbdd, v20
	v_add_f16_e32 v8, v62, v8
	v_mul_f16_e32 v59, 0x3964, v21
	v_fma_f16 v62, v18, 0xbbdd, -v66
	v_mul_f16_e32 v63, 0x3964, v22
	v_pack_b32_f16 v22, v22, v20
	v_add_f16_e32 v72, v72, v82
	v_add_f16_e32 v57, v57, v61
	v_fma_f16 v61, v20, 0x39e9, -v59
	v_add_f16_e32 v62, v62, v65
	v_fmamk_f16 v65, v18, 0x39e9, v63
	v_pack_b32_f16 v21, v18, v21
	v_pk_mul_f16 v22, 0xb461bbb2, v22
	v_add_f16_e32 v68, v68, v72
	v_add_f16_e32 v7, v61, v7
	v_fmac_f16_e32 v59, 0x39e9, v20
	v_add_f16_e32 v20, v65, v24
	v_fma_f16 v18, v18, 0x39e9, -v63
	v_pk_fma_f16 v24, 0xbbb2b461, v21, v22 neg_lo:[0,1,0] neg_hi:[0,1,0]
	v_pk_fma_f16 v61, 0xbbb2b461, v21, v22
	v_mul_f16_e32 v63, 0xb1e1, v49
	v_pk_fma_f16 v21, 0xbbb2b461, v21, v22 neg_lo:[0,0,1] neg_hi:[0,0,1]
	v_add_f16_e32 v64, v64, v68
	v_add_f16_e32 v6, v18, v6
	v_pk_add_f16 v12, v24, v12
	v_fma_f16 v18, v1, 0xbbdd, -v63
	v_mul_f16_e32 v24, 0xb1e1, v28
	v_pk_add_f16 v5, v21, v5
	v_mul_f16_e32 v21, 0x35c8, v49
	v_add_f16_e32 v22, v59, v64
	v_pk_add_f16 v14, v61, v14
	v_add_f16_e32 v13, v18, v13
	v_fmamk_f16 v18, v25, 0xbbdd, v24
	v_fma_f16 v24, v25, 0xbbdd, -v24
	v_fma_f16 v59, v1, 0x3b76, -v21
	v_mul_f16_e32 v61, 0x35c8, v28
	v_fmac_f16_e32 v21, 0x3b76, v1
	v_add_f16_e32 v15, v18, v15
	v_add_f16_e32 v18, v24, v23
	;; [unrolled: 1-line block ×3, first 2 shown]
	v_fmamk_f16 v24, v25, 0x3b76, v61
	v_mul_f16_e32 v27, 0xb836, v49
	v_fma_f16 v59, v25, 0x3b76, -v61
	v_mul_f16_e32 v61, 0xb836, v28
	v_add_f16_e32 v21, v21, v26
	v_add_f16_e32 v3, v24, v3
	v_fma_f16 v24, v1, 0xbacd, -v27
	v_add_f16_e32 v26, v59, v51
	v_fmamk_f16 v51, v25, 0xbacd, v61
	v_mul_f16_e32 v59, 0x3964, v49
	v_fmac_f16_e32 v27, 0xbacd, v1
	v_add_f16_e32 v17, v24, v17
	v_fma_f16 v24, v25, 0xbacd, -v61
	v_add_f16_e32 v51, v51, v52
	v_fma_f16 v52, v1, 0x39e9, -v59
	v_mul_f16_e32 v61, 0x3964, v28
	v_fmac_f16_e32 v63, 0xbbdd, v1
	v_add_f16_e32 v27, v27, v50
	v_mul_f16_e32 v50, 0xba62, v49
	v_add_f16_e32 v11, v52, v11
	v_fmamk_f16 v52, v25, 0x39e9, v61
	v_add_f16_e32 v4, v63, v4
	v_add_f16_e32 v24, v24, v54
	v_fmac_f16_e32 v59, 0x39e9, v1
	v_fma_f16 v54, v25, 0x39e9, -v61
	v_fma_f16 v61, v1, 0xb8d2, -v50
	v_mul_f16_e32 v63, 0xba62, v28
	v_add_f16_e32 v52, v52, v58
	v_fmac_f16_e32 v50, 0xb8d2, v1
	v_mul_f16_e32 v58, 0x3b29, v49
	v_add_f16_e32 v53, v59, v53
	v_add_f16_e32 v10, v54, v10
	;; [unrolled: 1-line block ×3, first 2 shown]
	v_fmamk_f16 v56, v25, 0xb8d2, v63
	v_fma_f16 v59, v25, 0xb8d2, -v63
	v_mul_f16_e32 v61, 0x3b29, v28
	v_add_f16_e32 v2, v50, v2
	v_fma_f16 v50, v1, 0x3722, -v58
	v_fmac_f16_e32 v58, 0x3722, v1
	v_add_f16_e32 v56, v56, v60
	v_add_f16_e32 v9, v59, v9
	v_fmamk_f16 v59, v25, 0x3722, v61
	v_mul_f16_e32 v60, 0xbbb2, v49
	v_add_f16_e32 v57, v58, v57
	v_mul_f16_e32 v58, 0xbbb2, v28
	v_pack_b32_f16 v28, v28, v1
	v_add_f16_e32 v8, v59, v8
	v_fma_f16 v59, v1, 0xb461, -v60
	v_fmac_f16_e32 v60, 0xb461, v1
	v_fmamk_f16 v1, v25, 0xb461, v58
	v_pack_b32_f16 v49, v25, v49
	v_pk_mul_f16 v28, 0x2de83bf7, v28
	v_add_f16_e32 v50, v50, v55
	v_fma_f16 v55, v25, 0x3722, -v61
	v_add_f16_e32 v1, v1, v20
	v_add_f16_e32 v20, v60, v22
	v_pk_fma_f16 v22, 0x3bf72de8, v49, v28 neg_lo:[0,1,0] neg_hi:[0,1,0]
	v_fma_f16 v25, v25, 0xb461, -v58
	v_pk_fma_f16 v58, 0x3bf72de8, v49, v28
	v_add_f16_e32 v7, v59, v7
	v_pack_b32_f16 v3, v23, v3
	v_pk_add_f16 v12, v22, v12
	v_pk_fma_f16 v22, 0x3bf72de8, v49, v28 neg_lo:[0,0,1] neg_hi:[0,0,1]
	v_pk_add_f16 v14, v58, v14
	v_pack_b32_f16 v13, v13, v15
	v_pack_b32_f16 v11, v11, v52
	;; [unrolled: 1-line block ×3, first 2 shown]
	v_pk_add_f16 v5, v22, v5
	v_pack_b32_f16 v8, v50, v8
	v_pack_b32_f16 v17, v54, v56
	;; [unrolled: 1-line block ×3, first 2 shown]
	v_add_f16_e32 v55, v55, v62
	v_add_f16_e32 v6, v25, v6
	ds_write2_b32 v48, v13, v3 offset0:1 offset1:2
	ds_write2_b32 v48, v15, v11 offset0:3 offset1:4
	;; [unrolled: 1-line block ×3, first 2 shown]
	ds_write2_b32 v48, v0, v1 offset1:7
	v_alignbit_b32 v0, v5, v14, 16
	v_alignbit_b32 v1, v14, v12, 16
	v_pack_b32_f16 v3, v57, v55
	v_pack_b32_f16 v5, v20, v6
	v_lshlrev_b32_e32 v12, 6, v44
	v_pack_b32_f16 v6, v53, v10
	ds_write2_b32 v48, v1, v0 offset0:8 offset1:9
	v_pack_b32_f16 v0, v4, v18
	v_pack_b32_f16 v2, v2, v9
	;; [unrolled: 1-line block ×4, first 2 shown]
	ds_write2_b32 v48, v5, v3 offset0:10 offset1:11
	ds_write2_b32 v48, v2, v6 offset0:12 offset1:13
	;; [unrolled: 1-line block ×3, first 2 shown]
	ds_write_b32 v48, v0 offset:64
	s_waitcnt lgkmcnt(0)
	s_barrier
	buffer_gl0_inv
	s_clause 0x3
	global_load_dwordx4 v[8:11], v12, s[2:3]
	global_load_dwordx4 v[0:3], v12, s[2:3] offset:48
	global_load_dwordx4 v[4:7], v12, s[2:3] offset:16
	;; [unrolled: 1-line block ×3, first 2 shown]
	ds_read2_b32 v[17:18], v31 offset1:17
	ds_read_b32 v20, v31 offset:1088
	s_mov_b32 s2, 0xd10d4986
	s_mov_b32 s3, 0x3f6c5894
	s_waitcnt lgkmcnt(1)
	v_lshrrev_b32_e32 v21, 16, v18
	s_waitcnt lgkmcnt(0)
	v_lshrrev_b32_e32 v23, 16, v20
	s_waitcnt vmcnt(3)
	v_mul_f16_sdwa v22, v18, v8 dst_sel:DWORD dst_unused:UNUSED_PAD src0_sel:DWORD src1_sel:WORD_1
	v_mul_f16_sdwa v24, v21, v8 dst_sel:DWORD dst_unused:UNUSED_PAD src0_sel:DWORD src1_sel:WORD_1
	s_waitcnt vmcnt(2)
	v_mul_f16_sdwa v108, v20, v3 dst_sel:DWORD dst_unused:UNUSED_PAD src0_sel:DWORD src1_sel:WORD_1
	v_fmac_f16_e32 v22, v21, v8
	v_mul_f16_sdwa v21, v23, v3 dst_sel:DWORD dst_unused:UNUSED_PAD src0_sel:DWORD src1_sel:WORD_1
	v_fma_f16 v18, v18, v8, -v24
	v_fmac_f16_e32 v108, v23, v3
	v_add_f16_sdwa v81, v22, v17 dst_sel:DWORD dst_unused:UNUSED_PAD src0_sel:DWORD src1_sel:WORD_1
	v_fma_f16 v73, v20, v3, -v21
	v_add_f16_e32 v80, v18, v17
	v_add_f16_e32 v53, v22, v108
	v_sub_f16_e32 v20, v22, v108
	v_sub_f16_e32 v25, v18, v73
	v_add_f16_e32 v21, v18, v73
	v_mul_f16_e32 v24, 0xb964, v20
	v_mul_f16_e32 v51, 0xbbb2, v20
	;; [unrolled: 1-line block ×7, first 2 shown]
	v_fmamk_f16 v60, v53, 0x39e9, v55
	v_fma_f16 v28, v21, 0x39e9, -v24
	v_mul_f16_e32 v49, 0xbbf7, v20
	v_mul_f16_e32 v64, 0xba62, v20
	v_fma_f16 v62, v21, 0xb461, -v51
	v_add_f16_sdwa v101, v60, v17 dst_sel:DWORD dst_unused:UNUSED_PAD src0_sel:DWORD src1_sel:WORD_1
	ds_read2_b32 v[60:61], v31 offset0:34 offset1:51
	v_mul_f16_e32 v71, 0xb836, v20
	v_mul_f16_e32 v74, 0xb1e1, v20
	;; [unrolled: 1-line block ×3, first 2 shown]
	v_fmamk_f16 v63, v53, 0x3722, v56
	v_mul_f16_e32 v58, 0xbbb2, v25
	v_fma_f16 v66, v53, 0x2de8, -v57
	v_fma_f16 v26, v21, 0x3b76, -v23
	v_fmac_f16_e32 v23, 0x3b76, v21
	v_fmac_f16_e32 v24, 0x39e9, v21
	v_fma_f16 v50, v21, 0x3722, -v27
	v_fmac_f16_e32 v27, 0x3722, v21
	v_fma_f16 v52, v21, 0x2de8, -v49
	v_fmac_f16_e32 v49, 0x2de8, v21
	v_fmac_f16_e32 v51, 0xb461, v21
	v_fma_f16 v20, v21, 0xb8d2, -v64
	v_fmac_f16_e32 v64, 0xb8d2, v21
	v_fma_f16 v69, v21, 0xbacd, -v71
	;; [unrolled: 2-line block ×3, first 2 shown]
	v_fmac_f16_e32 v74, 0xbbdd, v21
	v_fmamk_f16 v21, v53, 0x3b76, v54
	v_fma_f16 v54, v53, 0x3b76, -v54
	v_fmamk_f16 v65, v53, 0x2de8, v57
	v_mul_f16_e32 v57, 0xba62, v25
	v_fma_f16 v70, v53, 0xb461, -v58
	v_add_f16_e32 v100, v28, v17
	v_add_f16_sdwa v96, v63, v17 dst_sel:DWORD dst_unused:UNUSED_PAD src0_sel:DWORD src1_sel:WORD_1
	v_add_f16_sdwa v28, v66, v17 dst_sel:DWORD dst_unused:UNUSED_PAD src0_sel:DWORD src1_sel:WORD_1
	v_add_f16_e32 v66, v62, v17
	ds_read2_b32 v[62:63], v31 offset0:68 offset1:85
	v_fma_f16 v55, v53, 0x39e9, -v55
	v_mul_f16_e32 v59, 0xb836, v25
	v_mul_f16_e32 v25, 0xb1e1, v25
	v_fmamk_f16 v75, v53, 0xb8d2, v57
	v_fma_f16 v76, v53, 0xb8d2, -v57
	v_add_f16_sdwa v57, v54, v17 dst_sel:DWORD dst_unused:UNUSED_PAD src0_sel:DWORD src1_sel:WORD_1
	v_add_f16_e32 v54, v24, v17
	v_add_f16_e32 v103, v50, v17
	v_add_f16_sdwa v50, v70, v17 dst_sel:DWORD dst_unused:UNUSED_PAD src0_sel:DWORD src1_sel:WORD_1
	v_add_f16_e32 v24, v69, v17
	ds_read2_b32 v[69:70], v31 offset0:102 offset1:119
	v_fma_f16 v56, v53, 0x3722, -v56
	v_fmamk_f16 v67, v53, 0xb461, v58
	v_fmamk_f16 v77, v53, 0xbacd, v59
	v_fma_f16 v78, v53, 0xbacd, -v59
	v_fmamk_f16 v79, v53, 0xbbdd, v25
	v_fma_f16 v59, v53, 0xbbdd, -v25
	v_add_f16_e32 v82, v26, v17
	v_add_f16_sdwa v86, v21, v17 dst_sel:DWORD dst_unused:UNUSED_PAD src0_sel:DWORD src1_sel:WORD_1
	v_add_f16_e32 v58, v23, v17
	v_add_f16_sdwa v53, v55, v17 dst_sel:DWORD dst_unused:UNUSED_PAD src0_sel:DWORD src1_sel:WORD_1
	;; [unrolled: 2-line block ×3, first 2 shown]
	v_add_f16_e32 v26, v64, v17
	s_waitcnt lgkmcnt(2)
	v_lshrrev_b32_e32 v64, 16, v60
	v_lshrrev_b32_e32 v75, 16, v61
	v_add_f16_e32 v23, v71, v17
	v_add_f16_e32 v21, v72, v17
	ds_read2_b32 v[71:72], v31 offset0:136 offset1:153
	v_add_f16_sdwa v25, v76, v17 dst_sel:DWORD dst_unused:UNUSED_PAD src0_sel:DWORD src1_sel:WORD_1
	v_add_f16_sdwa v22, v77, v17 dst_sel:DWORD dst_unused:UNUSED_PAD src0_sel:DWORD src1_sel:WORD_1
	v_mul_f16_sdwa v76, v64, v9 dst_sel:DWORD dst_unused:UNUSED_PAD src0_sel:DWORD src1_sel:WORD_1
	v_mul_f16_sdwa v77, v75, v10 dst_sel:DWORD dst_unused:UNUSED_PAD src0_sel:DWORD src1_sel:WORD_1
	v_add_f16_e32 v68, v52, v17
	v_add_f16_e32 v52, v49, v17
	;; [unrolled: 1-line block ×4, first 2 shown]
	v_add_f16_sdwa v20, v78, v17 dst_sel:DWORD dst_unused:UNUSED_PAD src0_sel:DWORD src1_sel:WORD_1
	v_fma_f16 v76, v60, v9, -v76
	v_fma_f16 v78, v61, v10, -v77
	v_mul_f16_sdwa v77, v60, v9 dst_sel:DWORD dst_unused:UNUSED_PAD src0_sel:DWORD src1_sel:WORD_1
	s_waitcnt lgkmcnt(2)
	v_lshrrev_b32_e32 v60, 16, v62
	v_mul_f16_sdwa v87, v61, v10 dst_sel:DWORD dst_unused:UNUSED_PAD src0_sel:DWORD src1_sel:WORD_1
	v_mul_f16_sdwa v89, v62, v11 dst_sel:DWORD dst_unused:UNUSED_PAD src0_sel:DWORD src1_sel:WORD_1
	v_add_f16_sdwa v18, v79, v17 dst_sel:DWORD dst_unused:UNUSED_PAD src0_sel:DWORD src1_sel:WORD_1
	v_lshrrev_b32_e32 v79, 16, v63
	v_mul_f16_sdwa v61, v60, v11 dst_sel:DWORD dst_unused:UNUSED_PAD src0_sel:DWORD src1_sel:WORD_1
	v_fmac_f16_e32 v87, v75, v10
	s_waitcnt lgkmcnt(1)
	v_lshrrev_b32_e32 v75, 16, v69
	v_fmac_f16_e32 v89, v60, v11
	s_waitcnt lgkmcnt(0)
	v_lshrrev_b32_e32 v83, 16, v71
	v_fma_f16 v92, v62, v11, -v61
	ds_read2_b32 v[60:61], v31 offset0:170 offset1:187
	s_waitcnt vmcnt(1)
	v_mul_f16_sdwa v62, v75, v5 dst_sel:DWORD dst_unused:UNUSED_PAD src0_sel:DWORD src1_sel:WORD_1
	v_fmac_f16_e32 v77, v64, v9
	v_mul_f16_sdwa v64, v79, v4 dst_sel:DWORD dst_unused:UNUSED_PAD src0_sel:DWORD src1_sel:WORD_1
	v_mul_f16_sdwa v91, v70, v6 dst_sel:DWORD dst_unused:UNUSED_PAD src0_sel:DWORD src1_sel:WORD_1
	;; [unrolled: 1-line block ×3, first 2 shown]
	v_fma_f16 v85, v69, v5, -v62
	v_mul_f16_sdwa v62, v83, v7 dst_sel:DWORD dst_unused:UNUSED_PAD src0_sel:DWORD src1_sel:WORD_1
	v_fma_f16 v94, v63, v4, -v64
	v_lshrrev_b32_e32 v64, 16, v70
	v_lshrrev_b32_e32 v88, 16, v72
	v_mul_f16_sdwa v84, v69, v5 dst_sel:DWORD dst_unused:UNUSED_PAD src0_sel:DWORD src1_sel:WORD_1
	v_fma_f16 v98, v71, v7, -v62
	v_add_f16_e32 v62, v80, v76
	v_mul_f16_sdwa v63, v64, v6 dst_sel:DWORD dst_unused:UNUSED_PAD src0_sel:DWORD src1_sel:WORD_1
	v_fmac_f16_e32 v91, v64, v6
	v_add_f16_e32 v64, v81, v77
	s_waitcnt vmcnt(0)
	v_mul_f16_sdwa v93, v88, v12 dst_sel:DWORD dst_unused:UNUSED_PAD src0_sel:DWORD src1_sel:WORD_1
	v_add_f16_e32 v69, v62, v78
	v_mul_f16_sdwa v97, v71, v7 dst_sel:DWORD dst_unused:UNUSED_PAD src0_sel:DWORD src1_sel:WORD_1
	s_waitcnt lgkmcnt(0)
	v_lshrrev_b32_e32 v71, 16, v60
	v_add_f16_e32 v64, v64, v87
	v_fma_f16 v90, v70, v6, -v63
	v_add_f16_e32 v69, v69, v92
	v_fma_f16 v110, v72, v12, -v93
	v_mul_f16_sdwa v111, v72, v12 dst_sel:DWORD dst_unused:UNUSED_PAD src0_sel:DWORD src1_sel:WORD_1
	v_fmac_f16_e32 v99, v79, v4
	v_fmac_f16_e32 v84, v75, v5
	ds_read2_b32 v[62:63], v31 offset0:204 offset1:221
	v_add_f16_e32 v72, v69, v94
	v_mul_f16_sdwa v75, v71, v13 dst_sel:DWORD dst_unused:UNUSED_PAD src0_sel:DWORD src1_sel:WORD_1
	v_add_f16_e32 v64, v64, v89
	v_mul_f16_sdwa v102, v60, v13 dst_sel:DWORD dst_unused:UNUSED_PAD src0_sel:DWORD src1_sel:WORD_1
	v_lshrrev_b32_e32 v79, 16, v61
	ds_read2_b32 v[69:70], v31 offset0:238 offset1:255
	v_add_f16_e32 v72, v72, v85
	v_fma_f16 v104, v60, v13, -v75
	v_add_f16_e32 v60, v64, v99
	v_fmac_f16_e32 v102, v71, v13
	v_mul_f16_sdwa v64, v79, v14 dst_sel:DWORD dst_unused:UNUSED_PAD src0_sel:DWORD src1_sel:WORD_1
	v_add_f16_e32 v71, v72, v90
	v_fmac_f16_e32 v97, v83, v7
	v_add_f16_e32 v60, v60, v84
	v_fmac_f16_e32 v111, v88, v12
	v_fma_f16 v105, v61, v14, -v64
	v_add_f16_e32 v64, v71, v98
	v_mul_f16_sdwa v106, v61, v14 dst_sel:DWORD dst_unused:UNUSED_PAD src0_sel:DWORD src1_sel:WORD_1
	v_add_f16_e32 v60, v60, v91
	s_waitcnt lgkmcnt(1)
	v_lshrrev_b32_e32 v72, 16, v62
	v_lshrrev_b32_e32 v75, 16, v63
	v_add_f16_e32 v61, v64, v110
	v_mul_f16_sdwa v107, v62, v15 dst_sel:DWORD dst_unused:UNUSED_PAD src0_sel:DWORD src1_sel:WORD_1
	v_add_f16_e32 v60, v60, v97
	v_mul_f16_sdwa v71, v72, v15 dst_sel:DWORD dst_unused:UNUSED_PAD src0_sel:DWORD src1_sel:WORD_1
	s_waitcnt lgkmcnt(0)
	v_lshrrev_b32_e32 v64, 16, v69
	v_add_f16_e32 v61, v61, v104
	v_mul_f16_sdwa v80, v75, v0 dst_sel:DWORD dst_unused:UNUSED_PAD src0_sel:DWORD src1_sel:WORD_1
	v_add_f16_e32 v60, v60, v111
	v_fma_f16 v95, v62, v15, -v71
	v_mul_f16_sdwa v62, v64, v1 dst_sel:DWORD dst_unused:UNUSED_PAD src0_sel:DWORD src1_sel:WORD_1
	v_add_f16_e32 v61, v61, v105
	v_fmac_f16_e32 v106, v79, v14
	v_add_f16_e32 v60, v60, v102
	v_fma_f16 v80, v63, v0, -v80
	v_mul_f16_sdwa v93, v63, v0 dst_sel:DWORD dst_unused:UNUSED_PAD src0_sel:DWORD src1_sel:WORD_1
	v_lshrrev_b32_e32 v63, 16, v70
	v_fma_f16 v79, v69, v1, -v62
	v_add_f16_e32 v61, v61, v95
	v_fmac_f16_e32 v107, v72, v15
	v_add_f16_e32 v60, v60, v106
	v_mul_f16_sdwa v88, v69, v1 dst_sel:DWORD dst_unused:UNUSED_PAD src0_sel:DWORD src1_sel:WORD_1
	v_mul_f16_sdwa v69, v70, v2 dst_sel:DWORD dst_unused:UNUSED_PAD src0_sel:DWORD src1_sel:WORD_1
	;; [unrolled: 1-line block ×3, first 2 shown]
	v_add_f16_e32 v61, v61, v80
	v_fmac_f16_e32 v93, v75, v0
	v_add_f16_e32 v60, v60, v107
	v_fmac_f16_e32 v69, v63, v2
	v_fma_f16 v62, v70, v2, -v62
	v_add_f16_e32 v61, v61, v79
	v_fmac_f16_e32 v88, v64, v1
	v_add_f16_e32 v70, v60, v93
	v_sub_f16_e32 v64, v77, v69
	v_sub_f16_e32 v63, v76, v62
	v_add_f16_e32 v71, v61, v62
	v_add_f16_e32 v61, v77, v69
	;; [unrolled: 1-line block ×4, first 2 shown]
	v_mul_f16_e32 v77, 0xb964, v64
	v_mul_f16_e32 v81, 0xb964, v63
	v_add_f16_e32 v112, v71, v73
	v_add_f16_e32 v113, v70, v69
	v_sub_f16_e32 v71, v87, v88
	v_fma_f16 v70, v62, 0x39e9, -v77
	v_sub_f16_e32 v72, v78, v79
	v_fmamk_f16 v73, v61, 0x39e9, v81
	v_add_f16_e32 v69, v78, v79
	v_mul_f16_e32 v83, 0xbb29, v71
	v_add_f16_e32 v78, v70, v82
	v_add_f16_e32 v70, v87, v88
	v_mul_f16_e32 v88, 0xbb29, v72
	v_sub_f16_e32 v76, v89, v93
	v_add_f16_e32 v60, v74, v17
	v_add_f16_e32 v79, v73, v86
	v_fma_f16 v82, v69, 0x3722, -v83
	v_sub_f16_e32 v75, v92, v80
	v_fmamk_f16 v86, v70, 0x3722, v88
	v_add_f16_e32 v73, v89, v93
	v_add_f16_e32 v74, v92, v80
	v_mul_f16_e32 v89, 0xbbf7, v76
	v_mul_f16_e32 v93, 0xbbf7, v75
	v_add_f16_e32 v87, v82, v78
	v_add_f16_e32 v86, v86, v79
	v_sub_f16_e32 v80, v99, v107
	v_fma_f16 v79, v74, 0x2de8, -v89
	v_sub_f16_e32 v82, v94, v95
	v_fmamk_f16 v92, v73, 0x2de8, v93
	v_add_f16_e32 v78, v94, v95
	v_mul_f16_e32 v95, 0xbbb2, v80
	v_add_f16_e32 v94, v79, v87
	v_add_f16_e32 v79, v99, v107
	v_mul_f16_e32 v99, 0xbbb2, v82
	v_sub_f16_e32 v87, v84, v106
	v_add_f16_e32 v92, v92, v86
	v_fma_f16 v107, v78, 0xb461, -v95
	v_sub_f16_e32 v86, v85, v105
	v_fmamk_f16 v109, v79, 0xb461, v99
	v_add_f16_e32 v85, v85, v105
	v_mul_f16_e32 v105, 0xba62, v87
	v_add_f16_e32 v84, v84, v106
	v_mul_f16_e32 v106, 0xba62, v86
	v_add_f16_e32 v114, v107, v94
	v_add_f16_e32 v115, v109, v92
	v_sub_f16_e32 v92, v91, v102
	v_fma_f16 v109, v85, 0xb8d2, -v105
	v_sub_f16_e32 v94, v90, v104
	v_fmamk_f16 v116, v84, 0xb8d2, v106
	v_add_f16_e32 v90, v90, v104
	v_mul_f16_e32 v107, 0xb836, v92
	v_add_f16_e32 v114, v109, v114
	v_add_f16_e32 v91, v91, v102
	v_mul_f16_e32 v109, 0xb836, v94
	v_sub_f16_e32 v104, v97, v111
	v_add_f16_e32 v115, v116, v115
	v_fma_f16 v116, v90, 0xbacd, -v107
	v_sub_f16_e32 v102, v98, v110
	v_fmamk_f16 v117, v91, 0xbacd, v109
	v_add_f16_e32 v98, v98, v110
	v_mul_f16_e32 v110, 0xb1e1, v104
	v_add_f16_e32 v97, v97, v111
	v_mul_f16_e32 v111, 0xb1e1, v102
	v_add_f16_sdwa v108, v113, v108 dst_sel:WORD_1 dst_unused:UNUSED_PAD src0_sel:DWORD src1_sel:DWORD
	v_add_f16_e32 v113, v116, v114
	v_add_f16_e32 v114, v117, v115
	v_fma_f16 v115, v98, 0xbbdd, -v110
	v_mul_f16_e32 v119, 0xbbf7, v64
	v_mul_f16_e32 v124, 0xba62, v63
	v_fmamk_f16 v116, v97, 0xbbdd, v111
	v_mul_f16_e32 v120, 0xbbf7, v63
	v_add_f16_e32 v122, v115, v113
	v_fma_f16 v113, v62, 0x2de8, -v119
	v_or_b32_sdwa v125, v108, v112 dst_sel:DWORD dst_unused:UNUSED_PAD src0_sel:DWORD src1_sel:WORD_0
	v_fmamk_f16 v108, v61, 0xb8d2, v124
	v_mul_f16_e32 v126, 0xba62, v71
	v_mul_f16_e32 v121, 0xba62, v64
	v_add_f16_e32 v123, v116, v114
	v_fmamk_f16 v114, v61, 0x2de8, v120
	v_add_f16_e32 v100, v113, v100
	v_mul_f16_e32 v127, 0xba62, v72
	v_add_f16_e32 v96, v108, v96
	v_fma_f16 v108, v69, 0xb8d2, -v126
	v_mul_f16_e32 v130, 0xb1e1, v76
	v_fma_f16 v115, v62, 0xb8d2, -v121
	v_add_f16_e32 v101, v114, v101
	v_mul_f16_e32 v128, 0x31e1, v71
	v_mul_f16_e32 v129, 0x31e1, v72
	v_fmamk_f16 v112, v70, 0xb8d2, v127
	v_add_f16_e32 v100, v108, v100
	v_fma_f16 v108, v74, 0xbbdd, -v130
	v_mul_f16_e32 v131, 0xb1e1, v75
	v_add_f16_e32 v103, v115, v103
	v_fma_f16 v113, v69, 0xbbdd, -v128
	v_fmamk_f16 v114, v70, 0xbbdd, v129
	v_add_f16_e32 v101, v112, v101
	v_mul_f16_e32 v132, 0x3bb2, v76
	v_mul_f16_e32 v133, 0x3bb2, v75
	;; [unrolled: 1-line block ×3, first 2 shown]
	v_add_f16_e32 v100, v108, v100
	v_fmamk_f16 v108, v73, 0xbbdd, v131
	v_mul_f16_e32 v135, 0x3836, v82
	v_add_f16_e32 v103, v113, v103
	v_add_f16_e32 v96, v114, v96
	v_fma_f16 v112, v74, 0xb461, -v132
	v_fmamk_f16 v113, v73, 0xb461, v133
	v_fma_f16 v114, v78, 0xbacd, -v134
	v_add_f16_e32 v101, v108, v101
	v_fmamk_f16 v108, v79, 0xbacd, v135
	v_mul_f16_e32 v136, 0x3964, v80
	v_mul_f16_e32 v115, 0x3bb2, v87
	v_mul_f16_e32 v117, 0x3bb2, v86
	v_add_f16_e32 v103, v112, v103
	v_add_f16_e32 v96, v113, v96
	v_add_f16_e32 v100, v114, v100
	v_mul_f16_e32 v137, 0x3964, v82
	v_add_f16_e32 v101, v108, v101
	v_fma_f16 v108, v78, 0x39e9, -v136
	v_fma_f16 v113, v85, 0xb461, -v115
	v_fmamk_f16 v114, v84, 0xb461, v117
	v_mul_f16_e32 v116, 0xb5c8, v87
	v_fmamk_f16 v112, v79, 0x39e9, v137
	v_add_f16_e32 v103, v108, v103
	v_add_f16_e32 v100, v113, v100
	;; [unrolled: 1-line block ×3, first 2 shown]
	v_fma_f16 v114, v85, 0x3b76, -v116
	v_mul_f16_e32 v118, 0xb5c8, v86
	v_mul_f16_e32 v113, 0x3b29, v94
	v_add_f16_e32 v96, v112, v96
	v_mul_f16_e32 v108, 0x3b29, v92
	v_add_f16_e32 v103, v114, v103
	v_fmamk_f16 v138, v84, 0x3b76, v118
	v_fmamk_f16 v140, v91, 0x3722, v113
	v_mul_f16_e32 v114, 0xbbf7, v94
	v_mul_f16_e32 v112, 0xbbf7, v92
	v_fma_f16 v139, v90, 0x3722, -v108
	v_add_f16_e32 v138, v138, v96
	v_add_f16_e32 v140, v140, v101
	v_fmamk_f16 v142, v91, 0x2de8, v114
	v_mul_f16_e32 v96, 0x35c8, v104
	v_mul_f16_e32 v101, 0x35c8, v102
	v_fma_f16 v141, v90, 0x2de8, -v112
	v_add_f16_e32 v139, v139, v100
	v_mul_f16_e32 v100, 0xb836, v104
	v_add_f16_e32 v138, v142, v138
	v_fma_f16 v142, v98, 0x3b76, -v96
	v_fmamk_f16 v143, v97, 0x3b76, v101
	v_mul_f16_e32 v145, 0xb1e1, v64
	v_add_f16_e32 v141, v141, v103
	v_fma_f16 v144, v98, 0xbacd, -v100
	v_pack_b32_f16 v122, v122, v123
	v_add_f16_e32 v123, v142, v139
	v_add_f16_e32 v139, v143, v140
	v_fma_f16 v140, v62, 0xbbdd, -v145
	v_mul_f16_e32 v142, 0xb1e1, v63
	v_mul_f16_e32 v143, 0x3836, v64
	;; [unrolled: 1-line block ×3, first 2 shown]
	v_add_f16_sdwa v65, v65, v17 dst_sel:DWORD dst_unused:UNUSED_PAD src0_sel:DWORD src1_sel:WORD_1
	v_add_f16_sdwa v67, v67, v17 dst_sel:DWORD dst_unused:UNUSED_PAD src0_sel:DWORD src1_sel:WORD_1
	v_add_f16_e32 v141, v144, v141
	v_add_f16_e32 v68, v140, v68
	v_fmamk_f16 v140, v61, 0xbbdd, v142
	v_fma_f16 v144, v62, 0xbacd, -v143
	v_fmamk_f16 v148, v61, 0xbacd, v147
	v_mul_f16_e32 v149, 0x3bb2, v71
	v_mul_f16_e32 v150, 0x3bb2, v72
	v_add_f16_e32 v65, v140, v65
	v_add_f16_e32 v66, v144, v66
	;; [unrolled: 1-line block ×3, first 2 shown]
	v_fma_f16 v140, v69, 0xb461, -v149
	v_fmamk_f16 v144, v70, 0xb461, v150
	v_mul_f16_e32 v148, 0x3964, v71
	v_mul_f16_e32 v151, 0x3964, v72
	;; [unrolled: 1-line block ×3, first 2 shown]
	v_add_f16_e32 v68, v140, v68
	v_add_f16_e32 v65, v144, v65
	v_fma_f16 v140, v69, 0x39e9, -v148
	v_fmamk_f16 v144, v70, 0x39e9, v151
	v_fma_f16 v153, v74, 0x3b76, -v152
	v_mul_f16_e32 v154, 0x35c8, v75
	v_mul_f16_e32 v155, 0xbb29, v76
	v_add_f16_e32 v66, v140, v66
	v_add_f16_e32 v67, v144, v67
	v_mul_f16_e32 v140, 0xbb29, v75
	v_mul_f16_e32 v144, 0xbb29, v80
	v_add_f16_e32 v68, v153, v68
	v_fmamk_f16 v153, v73, 0x3b76, v154
	v_fma_f16 v156, v74, 0x3722, -v155
	v_fmamk_f16 v157, v73, 0x3722, v140
	v_fma_f16 v158, v78, 0x3722, -v144
	v_mul_f16_e32 v159, 0xbb29, v82
	v_add_f16_e32 v65, v153, v65
	v_add_f16_e32 v66, v156, v66
	;; [unrolled: 1-line block ×4, first 2 shown]
	v_fmamk_f16 v153, v79, 0x3722, v159
	v_mul_f16_e32 v156, 0xb1e1, v80
	v_mul_f16_e32 v157, 0xb1e1, v82
	;; [unrolled: 1-line block ×4, first 2 shown]
	v_add_f16_e32 v65, v153, v65
	v_fma_f16 v153, v78, 0xbbdd, -v156
	v_fmamk_f16 v161, v79, 0xbbdd, v157
	v_fma_f16 v162, v85, 0xbacd, -v158
	v_fmamk_f16 v163, v84, 0xbacd, v160
	v_mul_f16_e32 v164, 0x3bf7, v87
	v_add_f16_e32 v66, v153, v66
	v_add_f16_e32 v67, v161, v67
	;; [unrolled: 1-line block ×4, first 2 shown]
	v_fma_f16 v153, v85, 0x2de8, -v164
	v_mul_f16_e32 v161, 0x3bf7, v86
	v_mul_f16_e32 v162, 0x3a62, v92
	;; [unrolled: 1-line block ×4, first 2 shown]
	v_add_f16_e32 v66, v153, v66
	v_fmamk_f16 v153, v84, 0x2de8, v161
	v_fma_f16 v166, v90, 0xb8d2, -v162
	v_fmamk_f16 v167, v91, 0xb8d2, v163
	v_fma_f16 v168, v90, 0x3b76, -v165
	v_mul_f16_e32 v169, 0xb5c8, v94
	v_mul_f16_e32 v103, 0xb836, v102
	v_add_f16_e32 v153, v153, v67
	v_add_f16_e32 v166, v166, v68
	;; [unrolled: 1-line block ×4, first 2 shown]
	v_fmamk_f16 v170, v91, 0x3b76, v169
	v_mul_f16_e32 v68, 0x3964, v104
	v_mul_f16_e32 v66, 0x3964, v102
	;; [unrolled: 1-line block ×4, first 2 shown]
	v_fmamk_f16 v146, v97, 0xbacd, v103
	v_add_f16_e32 v153, v170, v153
	v_fma_f16 v170, v98, 0x39e9, -v68
	v_fmamk_f16 v171, v97, 0x39e9, v66
	v_fma_f16 v172, v98, 0xb8d2, -v65
	v_fmamk_f16 v173, v97, 0xb8d2, v67
	v_add_f16_e32 v138, v146, v138
	v_add_f16_e32 v146, v170, v166
	;; [unrolled: 1-line block ×5, first 2 shown]
	v_add_f16_sdwa v56, v56, v17 dst_sel:DWORD dst_unused:UNUSED_PAD src0_sel:DWORD src1_sel:WORD_1
	v_add_f16_sdwa v17, v59, v17 dst_sel:DWORD dst_unused:UNUSED_PAD src0_sel:DWORD src1_sel:WORD_1
	v_pack_b32_f16 v59, v123, v139
	v_pack_b32_f16 v123, v141, v138
	;; [unrolled: 1-line block ×4, first 2 shown]
	ds_write2_b32 v31, v125, v122 offset1:17
	ds_write2_b32 v31, v59, v123 offset0:34 offset1:51
	ds_write2_b32 v31, v138, v139 offset0:68 offset1:85
	v_fma_f16 v59, v61, 0x2de8, -v120
	v_fmac_f16_e32 v77, 0x39e9, v62
	v_fmac_f16_e32 v119, 0x2de8, v62
	v_fma_f16 v81, v61, 0x39e9, -v81
	v_mul_f16_e32 v120, 0x3bb2, v63
	v_add_f16_e32 v53, v59, v53
	v_mul_f16_e32 v59, 0x3bb2, v64
	v_add_f16_e32 v58, v77, v58
	v_fma_f16 v77, v61, 0xb8d2, -v124
	v_add_f16_e32 v54, v119, v54
	v_add_f16_e32 v57, v81, v57
	v_fma_f16 v119, v62, 0xb461, -v59
	v_fma_f16 v81, v61, 0xbacd, -v147
	v_add_f16_e32 v56, v77, v56
	v_fma_f16 v77, v61, 0xbbdd, -v142
	v_fmac_f16_e32 v59, 0xb461, v62
	v_add_f16_e32 v51, v119, v51
	v_mul_f16_e32 v119, 0x3b29, v63
	v_add_f16_e32 v50, v81, v50
	v_add_f16_e32 v28, v77, v28
	v_fmamk_f16 v77, v61, 0xb461, v120
	v_mul_f16_e32 v81, 0x3b29, v64
	v_add_f16_e32 v26, v59, v26
	v_fmamk_f16 v59, v61, 0x3722, v119
	v_mul_f16_e32 v64, 0x35c8, v64
	v_add_f16_e32 v27, v77, v27
	v_fma_f16 v77, v62, 0x3722, -v81
	v_fmac_f16_e32 v121, 0xb8d2, v62
	v_add_f16_e32 v22, v59, v22
	v_mul_f16_e32 v59, 0x35c8, v63
	v_fmac_f16_e32 v145, 0xbbdd, v62
	v_fmac_f16_e32 v143, 0xbacd, v62
	;; [unrolled: 1-line block ×3, first 2 shown]
	v_add_f16_e32 v24, v77, v24
	v_fma_f16 v77, v62, 0x3b76, -v64
	v_fmac_f16_e32 v64, 0x3b76, v62
	v_fmamk_f16 v62, v61, 0x3b76, v59
	v_fma_f16 v59, v61, 0x3b76, -v59
	v_fma_f16 v63, v61, 0x3722, -v119
	;; [unrolled: 1-line block ×4, first 2 shown]
	v_add_f16_e32 v18, v62, v18
	v_add_f16_e32 v17, v59, v17
	v_fma_f16 v59, v70, 0xb8d2, -v127
	v_add_f16_e32 v20, v63, v20
	v_add_f16_e32 v57, v61, v57
	v_fma_f16 v61, v70, 0xbbdd, -v129
	v_add_f16_e32 v60, v64, v60
	v_add_f16_e32 v53, v59, v53
	v_mul_f16_e32 v59, 0xb5c8, v71
	v_fma_f16 v62, v70, 0x39e9, -v151
	v_add_f16_e32 v56, v61, v56
	v_fma_f16 v61, v70, 0xb461, -v150
	v_mul_f16_e32 v64, 0xb5c8, v72
	v_fma_f16 v63, v69, 0x3b76, -v59
	v_fmac_f16_e32 v59, 0x3b76, v69
	v_add_f16_e32 v25, v120, v25
	v_add_f16_e32 v28, v61, v28
	;; [unrolled: 1-line block ×4, first 2 shown]
	v_mul_f16_e32 v63, 0xbbf7, v72
	v_add_f16_e32 v26, v59, v26
	v_fmamk_f16 v61, v70, 0x3b76, v64
	v_mul_f16_e32 v62, 0xbbf7, v71
	v_fma_f16 v64, v70, 0x3b76, -v64
	v_fmamk_f16 v59, v70, 0x2de8, v63
	v_add_f16_e32 v23, v81, v23
	v_add_f16_e32 v27, v61, v27
	v_fma_f16 v61, v69, 0x2de8, -v62
	v_add_f16_e32 v25, v64, v25
	v_add_f16_e32 v22, v59, v22
	v_mul_f16_e32 v59, 0xb836, v72
	v_fmac_f16_e32 v62, 0x2de8, v69
	v_add_f16_e32 v24, v61, v24
	v_mul_f16_e32 v61, 0xb836, v71
	v_add_f16_e32 v21, v77, v21
	v_fmamk_f16 v64, v70, 0xbacd, v59
	v_fma_f16 v59, v70, 0xbacd, -v59
	v_add_f16_e32 v23, v62, v23
	v_fma_f16 v62, v70, 0x2de8, -v63
	v_fma_f16 v63, v69, 0xbacd, -v61
	v_fmac_f16_e32 v61, 0xbacd, v69
	v_add_f16_e32 v17, v59, v17
	v_fma_f16 v59, v73, 0xbbdd, -v131
	v_add_f16_e32 v20, v62, v20
	v_add_f16_e32 v21, v63, v21
	v_fma_f16 v62, v73, 0x2de8, -v93
	v_add_f16_e32 v60, v61, v60
	v_add_f16_e32 v53, v59, v53
	v_mul_f16_e32 v59, 0xb836, v76
	v_fma_f16 v61, v73, 0xb461, -v133
	v_add_f16_e32 v18, v64, v18
	v_add_f16_e32 v57, v62, v57
	v_fma_f16 v62, v73, 0x3722, -v140
	v_fma_f16 v63, v74, 0xbacd, -v59
	v_fmac_f16_e32 v59, 0xbacd, v74
	v_add_f16_e32 v56, v61, v56
	v_fma_f16 v61, v73, 0x3b76, -v154
	v_mul_f16_e32 v64, 0xb836, v75
	v_add_f16_e32 v51, v63, v51
	v_mul_f16_e32 v63, 0x3a62, v75
	v_add_f16_e32 v26, v59, v26
	v_add_f16_e32 v28, v61, v28
	;; [unrolled: 1-line block ×3, first 2 shown]
	v_fmamk_f16 v61, v73, 0xbacd, v64
	v_fmamk_f16 v59, v73, 0xb8d2, v63
	v_mul_f16_e32 v62, 0x3a62, v76
	v_fma_f16 v64, v73, 0xbacd, -v64
	v_add_f16_e32 v49, v143, v49
	v_add_f16_e32 v27, v61, v27
	v_add_f16_e32 v22, v59, v22
	v_mul_f16_e32 v59, 0x3964, v75
	v_fma_f16 v61, v74, 0xb8d2, -v62
	v_add_f16_e32 v25, v64, v25
	v_fmac_f16_e32 v62, 0xb8d2, v74
	v_fmac_f16_e32 v148, 0x39e9, v69
	v_fmamk_f16 v64, v73, 0x39e9, v59
	v_fma_f16 v59, v73, 0x39e9, -v59
	v_add_f16_e32 v24, v61, v24
	v_mul_f16_e32 v61, 0x3964, v76
	v_add_f16_e32 v23, v62, v23
	v_fma_f16 v62, v73, 0xb8d2, -v63
	v_add_f16_e32 v17, v59, v17
	v_fma_f16 v59, v79, 0xbacd, -v135
	v_fma_f16 v63, v74, 0x39e9, -v61
	v_fmac_f16_e32 v61, 0x39e9, v74
	v_add_f16_e32 v20, v62, v20
	v_fma_f16 v62, v79, 0xb461, -v99
	v_add_f16_e32 v53, v59, v53
	v_mul_f16_e32 v59, 0x3bf7, v80
	v_add_f16_e32 v21, v63, v21
	v_add_f16_e32 v60, v61, v60
	v_fma_f16 v61, v79, 0x39e9, -v137
	v_add_f16_e32 v18, v64, v18
	v_fma_f16 v63, v78, 0x2de8, -v59
	v_fmac_f16_e32 v59, 0x2de8, v78
	v_add_f16_e32 v57, v62, v57
	v_add_f16_e32 v56, v61, v56
	v_fma_f16 v61, v79, 0x3722, -v159
	v_add_f16_e32 v51, v63, v51
	v_mul_f16_e32 v63, 0xb5c8, v82
	v_fma_f16 v62, v79, 0xbbdd, -v157
	v_mul_f16_e32 v64, 0x3bf7, v82
	v_add_f16_e32 v26, v59, v26
	v_add_f16_e32 v28, v61, v28
	v_fmamk_f16 v59, v79, 0x3b76, v63
	v_add_f16_e32 v50, v62, v50
	v_fmamk_f16 v61, v79, 0x2de8, v64
	v_mul_f16_e32 v62, 0xb5c8, v80
	v_fma_f16 v64, v79, 0x2de8, -v64
	v_add_f16_e32 v22, v59, v22
	v_mul_f16_e32 v59, 0xba62, v82
	v_add_f16_e32 v27, v61, v27
	v_fma_f16 v61, v78, 0x3b76, -v62
	v_add_f16_e32 v25, v64, v25
	v_fmac_f16_e32 v62, 0x3b76, v78
	v_fmamk_f16 v64, v79, 0xb8d2, v59
	v_fma_f16 v59, v79, 0xb8d2, -v59
	v_add_f16_e32 v24, v61, v24
	v_mul_f16_e32 v61, 0xba62, v80
	v_add_f16_e32 v23, v62, v23
	v_fma_f16 v62, v79, 0x3b76, -v63
	v_add_f16_e32 v17, v59, v17
	v_fma_f16 v59, v84, 0xb461, -v117
	v_fma_f16 v63, v78, 0xb8d2, -v61
	v_fmac_f16_e32 v61, 0xb8d2, v78
	v_add_f16_e32 v20, v62, v20
	v_fma_f16 v62, v84, 0xb8d2, -v106
	v_add_f16_e32 v53, v59, v53
	v_mul_f16_e32 v59, 0xb964, v87
	v_add_f16_e32 v21, v63, v21
	v_add_f16_e32 v60, v61, v60
	v_fma_f16 v61, v84, 0x3b76, -v118
	v_add_f16_e32 v18, v64, v18
	v_fma_f16 v63, v85, 0x39e9, -v59
	v_fmac_f16_e32 v59, 0x39e9, v85
	v_add_f16_e32 v57, v62, v57
	v_add_f16_e32 v56, v61, v56
	v_fma_f16 v61, v84, 0xbacd, -v160
	v_add_f16_e32 v51, v63, v51
	v_mul_f16_e32 v63, 0xb1e1, v86
	v_fma_f16 v62, v84, 0x2de8, -v161
	v_mul_f16_e32 v64, 0xb964, v86
	v_add_f16_e32 v26, v59, v26
	v_add_f16_e32 v28, v61, v28
	v_fmamk_f16 v59, v84, 0xbbdd, v63
	v_add_f16_e32 v50, v62, v50
	v_fmamk_f16 v61, v84, 0x39e9, v64
	v_mul_f16_e32 v62, 0xb1e1, v87
	v_fma_f16 v64, v84, 0x39e9, -v64
	v_add_f16_e32 v22, v59, v22
	v_mul_f16_e32 v59, 0x3b29, v86
	v_add_f16_e32 v27, v61, v27
	v_fma_f16 v61, v85, 0xbbdd, -v62
	v_add_f16_e32 v25, v64, v25
	v_fmac_f16_e32 v62, 0xbbdd, v85
	v_fmamk_f16 v64, v84, 0x3722, v59
	v_fma_f16 v59, v84, 0x3722, -v59
	v_add_f16_e32 v24, v61, v24
	v_mul_f16_e32 v61, 0x3b29, v87
	v_add_f16_e32 v23, v62, v23
	v_fma_f16 v62, v84, 0xbbdd, -v63
	v_add_f16_e32 v17, v59, v17
	v_fma_f16 v59, v91, 0x3722, -v113
	v_fma_f16 v63, v85, 0x3722, -v61
	v_fmac_f16_e32 v61, 0x3722, v85
	v_add_f16_e32 v20, v62, v20
	v_fma_f16 v62, v91, 0xbacd, -v109
	v_add_f16_e32 v53, v59, v53
	v_mul_f16_e32 v59, 0xb1e1, v92
	v_add_f16_e32 v21, v63, v21
	v_add_f16_e32 v60, v61, v60
	v_fma_f16 v61, v91, 0x2de8, -v114
	v_add_f16_e32 v18, v64, v18
	v_fma_f16 v63, v90, 0xbbdd, -v59
	;; [unrolled: 2-line block ×4, first 2 shown]
	v_mul_f16_e32 v64, 0xb1e1, v94
	v_add_f16_e32 v51, v63, v51
	v_fmac_f16_e32 v59, 0xbbdd, v90
	v_mul_f16_e32 v63, 0x3964, v94
	v_add_f16_e32 v28, v61, v28
	v_add_f16_e32 v50, v62, v50
	v_fmamk_f16 v61, v91, 0xbbdd, v64
	v_mul_f16_e32 v62, 0x3964, v92
	v_add_f16_e32 v26, v59, v26
	v_fmamk_f16 v59, v91, 0x39e9, v63
	v_fma_f16 v64, v91, 0xbbdd, -v64
	v_add_f16_e32 v27, v61, v27
	v_fma_f16 v61, v90, 0x39e9, -v62
	v_add_f16_e32 v49, v148, v49
	v_add_f16_e32 v22, v59, v22
	v_mul_f16_e32 v59, 0xbbb2, v94
	v_fmac_f16_e32 v155, 0x3722, v74
	v_add_f16_e32 v25, v64, v25
	v_fmac_f16_e32 v62, 0x39e9, v90
	v_add_f16_e32 v24, v61, v24
	v_mul_f16_e32 v61, 0xbbb2, v92
	v_fmamk_f16 v64, v91, 0xb461, v59
	v_fma_f16 v59, v91, 0xb461, -v59
	v_add_f16_e32 v49, v155, v49
	v_fmac_f16_e32 v156, 0xbbdd, v78
	v_add_f16_e32 v23, v62, v23
	v_fma_f16 v62, v91, 0x39e9, -v63
	v_fma_f16 v63, v90, 0xb461, -v61
	v_fmac_f16_e32 v61, 0xb461, v90
	v_add_f16_e32 v17, v59, v17
	v_fma_f16 v59, v97, 0x3b76, -v101
	v_add_f16_e32 v52, v145, v52
	v_fmac_f16_e32 v149, 0xb461, v69
	v_add_f16_e32 v55, v121, v55
	v_fmac_f16_e32 v126, 0xb8d2, v69
	v_fmac_f16_e32 v128, 0xbbdd, v69
	;; [unrolled: 1-line block ×3, first 2 shown]
	v_add_f16_e32 v49, v156, v49
	v_fmac_f16_e32 v164, 0x2de8, v85
	v_add_f16_e32 v20, v62, v20
	v_fma_f16 v62, v97, 0xbbdd, -v111
	v_add_f16_e32 v60, v61, v60
	v_fma_f16 v61, v97, 0xbacd, -v103
	v_add_f16_e32 v53, v59, v53
	v_mul_f16_e32 v59, 0x3b29, v104
	v_add_f16_e32 v52, v149, v52
	v_fmac_f16_e32 v152, 0x3b76, v74
	v_add_f16_e32 v54, v126, v54
	v_add_f16_e32 v55, v128, v55
	v_fmac_f16_e32 v130, 0xbbdd, v74
	v_fmac_f16_e32 v132, 0xb461, v74
	v_add_f16_e32 v58, v83, v58
	v_fmac_f16_e32 v89, 0x2de8, v74
	v_add_f16_e32 v49, v164, v49
	;; [unrolled: 2-line block ×3, first 2 shown]
	v_add_f16_e32 v18, v64, v18
	v_add_f16_e32 v57, v62, v57
	;; [unrolled: 1-line block ×3, first 2 shown]
	v_fma_f16 v61, v97, 0x39e9, -v66
	v_fma_f16 v62, v97, 0xb8d2, -v67
	v_mul_f16_e32 v63, 0x3b29, v102
	v_fma_f16 v64, v98, 0x3722, -v59
	v_add_f16_e32 v52, v152, v52
	v_fmac_f16_e32 v144, 0x3722, v78
	v_add_f16_e32 v54, v130, v54
	v_add_f16_e32 v55, v132, v55
	v_fmac_f16_e32 v134, 0xbacd, v78
	v_fmac_f16_e32 v136, 0x39e9, v78
	v_add_f16_e32 v58, v89, v58
	v_fmac_f16_e32 v95, 0xb461, v78
	v_add_f16_e32 v49, v165, v49
	;; [unrolled: 2-line block ×3, first 2 shown]
	v_add_f16_e32 v50, v62, v50
	v_fmamk_f16 v61, v97, 0x3722, v63
	v_add_f16_e32 v51, v64, v51
	v_fmac_f16_e32 v59, 0x3722, v98
	v_mul_f16_e32 v62, 0xbbb2, v104
	v_mul_f16_e32 v64, 0xbbb2, v102
	v_add_f16_e32 v52, v144, v52
	v_fmac_f16_e32 v158, 0xbacd, v85
	v_add_f16_e32 v54, v134, v54
	v_add_f16_e32 v55, v136, v55
	v_fmac_f16_e32 v115, 0xb461, v85
	v_fmac_f16_e32 v116, 0x3b76, v85
	v_add_f16_e32 v58, v95, v58
	v_fmac_f16_e32 v105, 0xb8d2, v85
	v_add_f16_e32 v49, v65, v49
	v_add_f16_e32 v27, v61, v27
	v_mul_f16_e32 v61, 0x3bf7, v104
	v_add_f16_e32 v26, v59, v26
	v_fma_f16 v59, v98, 0xb461, -v62
	v_fmamk_f16 v65, v97, 0xb461, v64
	v_fmac_f16_e32 v62, 0xb461, v98
	v_mul_f16_e32 v67, 0x3bf7, v102
	v_add_f16_e32 v52, v158, v52
	v_fmac_f16_e32 v162, 0xb8d2, v90
	v_add_f16_e32 v54, v115, v54
	v_add_f16_e32 v55, v116, v55
	v_fmac_f16_e32 v108, 0x3722, v90
	v_fmac_f16_e32 v112, 0x2de8, v90
	v_add_f16_e32 v58, v105, v58
	v_fmac_f16_e32 v107, 0xbacd, v90
	v_fma_f16 v66, v98, 0x2de8, -v61
	v_add_f16_e32 v24, v59, v24
	v_add_f16_e32 v22, v65, v22
	;; [unrolled: 1-line block ×3, first 2 shown]
	v_fmamk_f16 v59, v97, 0x2de8, v67
	v_fmac_f16_e32 v61, 0x2de8, v98
	v_fma_f16 v62, v97, 0x3722, -v63
	v_fma_f16 v63, v97, 0xb461, -v64
	;; [unrolled: 1-line block ×3, first 2 shown]
	v_add_f16_e32 v52, v162, v52
	v_fmac_f16_e32 v68, 0x39e9, v98
	v_add_f16_e32 v54, v108, v54
	v_add_f16_e32 v55, v112, v55
	v_fmac_f16_e32 v96, 0x3b76, v98
	v_fmac_f16_e32 v100, 0xbacd, v98
	v_add_f16_e32 v58, v107, v58
	v_fmac_f16_e32 v110, 0xbbdd, v98
	v_add_f16_e32 v21, v66, v21
	v_add_f16_e32 v18, v59, v18
	v_pack_b32_f16 v22, v24, v22
	v_add_f16_e32 v24, v61, v60
	v_add_f16_e32 v17, v64, v17
	;; [unrolled: 1-line block ×5, first 2 shown]
	v_pack_b32_f16 v27, v51, v27
	v_add_f16_e32 v54, v96, v54
	v_add_f16_e32 v55, v100, v55
	;; [unrolled: 1-line block ×3, first 2 shown]
	v_pack_b32_f16 v18, v21, v18
	v_pack_b32_f16 v17, v24, v17
	;; [unrolled: 1-line block ×4, first 2 shown]
	ds_write2_b32 v31, v27, v22 offset0:102 offset1:119
	v_pack_b32_f16 v22, v49, v50
	v_pack_b32_f16 v23, v52, v28
	;; [unrolled: 1-line block ×5, first 2 shown]
	ds_write2_b32 v31, v18, v17 offset0:136 offset1:153
	ds_write2_b32 v31, v20, v21 offset0:170 offset1:187
	;; [unrolled: 1-line block ×4, first 2 shown]
	ds_write_b32 v31, v26 offset:1088
	s_waitcnt lgkmcnt(0)
	s_barrier
	buffer_gl0_inv
	s_clause 0x10
	global_load_dword v21, v19, s[0:1] offset:1156
	global_load_dword v23, v19, s[6:7] offset:68
	;; [unrolled: 1-line block ×17, first 2 shown]
	ds_read2_b32 v[17:18], v31 offset1:17
	ds_read2_b32 v[19:20], v31 offset0:34 offset1:51
	v_mov_b32_e32 v66, 0xbb29
	v_mov_b32_e32 v125, 0x3836
	;; [unrolled: 1-line block ×4, first 2 shown]
	s_waitcnt lgkmcnt(1)
	v_lshrrev_b32_e32 v22, 16, v17
	v_lshrrev_b32_e32 v59, 16, v18
	s_waitcnt vmcnt(16)
	v_mul_f16_sdwa v60, v17, v21 dst_sel:DWORD dst_unused:UNUSED_PAD src0_sel:DWORD src1_sel:WORD_1
	v_mul_f16_sdwa v61, v22, v21 dst_sel:DWORD dst_unused:UNUSED_PAD src0_sel:DWORD src1_sel:WORD_1
	s_waitcnt vmcnt(15)
	v_mul_f16_sdwa v62, v59, v23 dst_sel:DWORD dst_unused:UNUSED_PAD src0_sel:DWORD src1_sel:WORD_1
	v_mul_f16_sdwa v63, v18, v23 dst_sel:DWORD dst_unused:UNUSED_PAD src0_sel:DWORD src1_sel:WORD_1
	v_fmac_f16_e32 v60, v22, v21
	v_fma_f16 v17, v17, v21, -v61
	ds_read2_b32 v[21:22], v31 offset0:68 offset1:85
	v_fma_f16 v18, v18, v23, -v62
	v_fmac_f16_e32 v63, v59, v23
	s_waitcnt lgkmcnt(1)
	v_lshrrev_b32_e32 v61, 16, v20
	v_pack_b32_f16 v23, v17, v60
	v_lshrrev_b32_e32 v60, 16, v19
	s_waitcnt vmcnt(14)
	v_mul_f16_sdwa v62, v19, v24 dst_sel:DWORD dst_unused:UNUSED_PAD src0_sel:DWORD src1_sel:WORD_1
	v_pack_b32_f16 v59, v18, v63
	ds_read2_b32 v[17:18], v31 offset0:102 offset1:119
	s_waitcnt vmcnt(13)
	v_mul_f16_sdwa v64, v61, v25 dst_sel:DWORD dst_unused:UNUSED_PAD src0_sel:DWORD src1_sel:WORD_1
	v_mul_f16_sdwa v63, v60, v24 dst_sel:DWORD dst_unused:UNUSED_PAD src0_sel:DWORD src1_sel:WORD_1
	v_fmac_f16_e32 v62, v60, v24
	ds_write2_b32 v31, v23, v59 offset1:17
	v_mul_f16_sdwa v23, v20, v25 dst_sel:DWORD dst_unused:UNUSED_PAD src0_sel:DWORD src1_sel:WORD_1
	v_fma_f16 v19, v19, v24, -v63
	v_fma_f16 v24, v20, v25, -v64
	v_fmac_f16_e32 v23, v61, v25
	s_waitcnt lgkmcnt(2)
	v_lshrrev_b32_e32 v59, 16, v21
	s_waitcnt vmcnt(12)
	v_mul_f16_sdwa v25, v21, v26 dst_sel:DWORD dst_unused:UNUSED_PAD src0_sel:DWORD src1_sel:WORD_1
	v_lshrrev_b32_e32 v60, 16, v22
	v_pack_b32_f16 v61, v19, v62
	ds_read2_b32 v[19:20], v31 offset0:136 offset1:153
	v_mul_f16_sdwa v62, v59, v26 dst_sel:DWORD dst_unused:UNUSED_PAD src0_sel:DWORD src1_sel:WORD_1
	v_fmac_f16_e32 v25, v59, v26
	s_waitcnt vmcnt(11)
	v_mul_f16_sdwa v63, v60, v27 dst_sel:DWORD dst_unused:UNUSED_PAD src0_sel:DWORD src1_sel:WORD_1
	s_waitcnt lgkmcnt(2)
	v_lshrrev_b32_e32 v59, 16, v17
	v_mul_f16_sdwa v64, v22, v27 dst_sel:DWORD dst_unused:UNUSED_PAD src0_sel:DWORD src1_sel:WORD_1
	v_fma_f16 v21, v21, v26, -v62
	v_pack_b32_f16 v23, v24, v23
	v_lshrrev_b32_e32 v26, 16, v18
	s_waitcnt vmcnt(10)
	v_mul_f16_sdwa v24, v59, v28 dst_sel:DWORD dst_unused:UNUSED_PAD src0_sel:DWORD src1_sel:WORD_1
	v_fma_f16 v22, v22, v27, -v63
	v_fmac_f16_e32 v64, v60, v27
	v_mul_f16_sdwa v27, v17, v28 dst_sel:DWORD dst_unused:UNUSED_PAD src0_sel:DWORD src1_sel:WORD_1
	s_waitcnt vmcnt(9)
	v_mul_f16_sdwa v62, v18, v49 dst_sel:DWORD dst_unused:UNUSED_PAD src0_sel:DWORD src1_sel:WORD_1
	v_fma_f16 v17, v17, v28, -v24
	v_mul_f16_sdwa v24, v26, v49 dst_sel:DWORD dst_unused:UNUSED_PAD src0_sel:DWORD src1_sel:WORD_1
	v_pack_b32_f16 v25, v21, v25
	v_pack_b32_f16 v60, v22, v64
	v_fmac_f16_e32 v27, v59, v28
	ds_read2_b32 v[21:22], v31 offset0:170 offset1:187
	v_fma_f16 v18, v18, v49, -v24
	v_fmac_f16_e32 v62, v26, v49
	ds_write2_b32 v31, v61, v23 offset0:34 offset1:51
	s_waitcnt lgkmcnt(2)
	v_lshrrev_b32_e32 v23, 16, v19
	v_pack_b32_f16 v24, v17, v27
	s_waitcnt vmcnt(8)
	v_mul_f16_sdwa v26, v19, v50 dst_sel:DWORD dst_unused:UNUSED_PAD src0_sel:DWORD src1_sel:WORD_1
	v_lshrrev_b32_e32 v27, 16, v20
	v_pack_b32_f16 v28, v18, v62
	ds_read2_b32 v[17:18], v31 offset0:204 offset1:221
	v_mul_f16_sdwa v49, v23, v50 dst_sel:DWORD dst_unused:UNUSED_PAD src0_sel:DWORD src1_sel:WORD_1
	v_fmac_f16_e32 v26, v23, v50
	s_waitcnt vmcnt(7)
	v_mul_f16_sdwa v23, v27, v51 dst_sel:DWORD dst_unused:UNUSED_PAD src0_sel:DWORD src1_sel:WORD_1
	v_mul_f16_sdwa v59, v20, v51 dst_sel:DWORD dst_unused:UNUSED_PAD src0_sel:DWORD src1_sel:WORD_1
	ds_write2_b32 v31, v25, v60 offset0:68 offset1:85
	ds_write2_b32 v31, v24, v28 offset0:102 offset1:119
	v_fma_f16 v19, v19, v50, -v49
	ds_read_b32 v49, v31 offset:1088
	v_fma_f16 v20, v20, v51, -v23
	v_fmac_f16_e32 v59, v27, v51
	v_mov_b32_e32 v61, 0xb964
	v_pack_b32_f16 v23, v19, v26
	s_waitcnt lgkmcnt(5)
	v_lshrrev_b32_e32 v24, 16, v21
	s_waitcnt vmcnt(6)
	v_mul_f16_sdwa v25, v21, v52 dst_sel:DWORD dst_unused:UNUSED_PAD src0_sel:DWORD src1_sel:WORD_1
	v_lshrrev_b32_e32 v26, 16, v22
	v_pack_b32_f16 v27, v20, v59
	ds_read2_b32 v[19:20], v31 offset0:238 offset1:255
	v_mul_f16_sdwa v28, v24, v52 dst_sel:DWORD dst_unused:UNUSED_PAD src0_sel:DWORD src1_sel:WORD_1
	v_fmac_f16_e32 v25, v24, v52
	s_waitcnt vmcnt(5)
	v_mul_f16_sdwa v24, v26, v53 dst_sel:DWORD dst_unused:UNUSED_PAD src0_sel:DWORD src1_sel:WORD_1
	v_mul_f16_sdwa v50, v22, v53 dst_sel:DWORD dst_unused:UNUSED_PAD src0_sel:DWORD src1_sel:WORD_1
	s_waitcnt lgkmcnt(4)
	v_lshrrev_b32_e32 v51, 16, v17
	v_fma_f16 v21, v21, v52, -v28
	s_waitcnt vmcnt(4)
	v_mul_f16_sdwa v28, v17, v54 dst_sel:DWORD dst_unused:UNUSED_PAD src0_sel:DWORD src1_sel:WORD_1
	v_fma_f16 v22, v22, v53, -v24
	v_lshrrev_b32_e32 v24, 16, v18
	v_fmac_f16_e32 v50, v26, v53
	v_mul_f16_sdwa v26, v51, v54 dst_sel:DWORD dst_unused:UNUSED_PAD src0_sel:DWORD src1_sel:WORD_1
	v_pack_b32_f16 v21, v21, v25
	v_fmac_f16_e32 v28, v51, v54
	s_waitcnt vmcnt(3)
	v_mul_f16_sdwa v25, v24, v55 dst_sel:DWORD dst_unused:UNUSED_PAD src0_sel:DWORD src1_sel:WORD_1
	v_pack_b32_f16 v22, v22, v50
	v_fma_f16 v17, v17, v54, -v26
	v_mul_f16_sdwa v26, v18, v55 dst_sel:DWORD dst_unused:UNUSED_PAD src0_sel:DWORD src1_sel:WORD_1
	v_mov_b32_e32 v59, 0xbbf7
	v_fma_f16 v18, v18, v55, -v25
	s_waitcnt lgkmcnt(0)
	v_lshrrev_b32_e32 v25, 16, v19
	s_waitcnt vmcnt(2)
	v_mul_f16_sdwa v50, v19, v56 dst_sel:DWORD dst_unused:UNUSED_PAD src0_sel:DWORD src1_sel:WORD_1
	v_lshrrev_b32_e32 v51, 16, v20
	v_fmac_f16_e32 v26, v24, v55
	v_lshrrev_b32_e32 v24, 16, v49
	v_mul_f16_sdwa v52, v25, v56 dst_sel:DWORD dst_unused:UNUSED_PAD src0_sel:DWORD src1_sel:WORD_1
	v_fmac_f16_e32 v50, v25, v56
	s_waitcnt vmcnt(1)
	v_mul_f16_sdwa v25, v51, v57 dst_sel:DWORD dst_unused:UNUSED_PAD src0_sel:DWORD src1_sel:WORD_1
	v_mul_f16_sdwa v53, v20, v57 dst_sel:DWORD dst_unused:UNUSED_PAD src0_sel:DWORD src1_sel:WORD_1
	s_waitcnt vmcnt(0)
	v_mul_f16_sdwa v54, v24, v58 dst_sel:DWORD dst_unused:UNUSED_PAD src0_sel:DWORD src1_sel:WORD_1
	v_mul_f16_sdwa v55, v49, v58 dst_sel:DWORD dst_unused:UNUSED_PAD src0_sel:DWORD src1_sel:WORD_1
	v_fma_f16 v19, v19, v56, -v52
	v_fma_f16 v20, v20, v57, -v25
	v_fmac_f16_e32 v53, v51, v57
	v_fma_f16 v25, v49, v58, -v54
	v_fmac_f16_e32 v55, v24, v58
	v_pack_b32_f16 v17, v17, v28
	v_pack_b32_f16 v18, v18, v26
	v_pack_b32_f16 v19, v19, v50
	v_pack_b32_f16 v20, v20, v53
	v_pack_b32_f16 v24, v25, v55
	ds_write2_b32 v31, v23, v27 offset0:136 offset1:153
	ds_write2_b32 v31, v21, v22 offset0:170 offset1:187
	ds_write2_b32 v31, v17, v18 offset0:204 offset1:221
	ds_write2_b32 v31, v19, v20 offset0:238 offset1:255
	ds_write_b32 v31, v24 offset:1088
	s_waitcnt lgkmcnt(0)
	s_barrier
	buffer_gl0_inv
	ds_read2_b32 v[17:18], v31 offset1:17
	ds_read2_b32 v[21:22], v31 offset0:34 offset1:51
	ds_read2_b32 v[50:51], v31 offset0:68 offset1:85
	;; [unrolled: 1-line block ×5, first 2 shown]
	ds_read_b32 v58, v31 offset:1088
	v_mov_b32_e32 v60, 0x2de8
	v_mov_b32_e32 v57, 0xb836
	s_waitcnt lgkmcnt(6)
	v_pk_add_f16 v19, v18, v17
	s_waitcnt lgkmcnt(5)
	v_pk_add_f16 v19, v19, v21
	s_waitcnt lgkmcnt(0)
	v_pk_add_f16 v62, v18, v58 neg_lo:[0,1] neg_hi:[0,1]
	v_pk_add_f16 v52, v55, v50
	v_pk_add_f16 v53, v50, v55 neg_lo:[0,1] neg_hi:[0,1]
	v_pk_add_f16 v63, v58, v18
	v_pk_add_f16 v23, v19, v22
	ds_read2_b32 v[19:20], v31 offset0:136 offset1:153
	v_mul_f16_sdwa v95, v62, v57 dst_sel:DWORD dst_unused:UNUSED_PAD src0_sel:WORD_1 src1_sel:DWORD
	v_mul_f16_sdwa v121, v53, v59 dst_sel:DWORD dst_unused:UNUSED_PAD src0_sel:WORD_1 src1_sel:DWORD
	;; [unrolled: 1-line block ×3, first 2 shown]
	v_pk_add_f16 v23, v23, v50
	v_pk_add_f16 v50, v54, v51
	v_fmamk_f16 v97, v63, 0xbacd, v95
	v_fma_f16 v95, v63, 0xbacd, -v95
	v_fmamk_f16 v82, v62, 0x3bf7, v77
	v_pk_add_f16 v23, v23, v51
	v_pk_add_f16 v51, v51, v54 neg_lo:[0,1] neg_hi:[0,1]
	v_fmac_f16_e32 v77, 0xbbf7, v62
	v_mul_f16_sdwa v122, v52, v60 dst_sel:DWORD dst_unused:UNUSED_PAD src0_sel:WORD_1 src1_sel:DWORD
	v_add_f16_sdwa v109, v82, v17 dst_sel:DWORD dst_unused:UNUSED_PAD src0_sel:DWORD src1_sel:WORD_1
	v_pk_add_f16 v23, v23, v25
	v_add_f16_e32 v97, v97, v17
	v_add_f16_sdwa v111, v77, v17 dst_sel:DWORD dst_unused:UNUSED_PAD src0_sel:DWORD src1_sel:WORD_1
	v_add_f16_e32 v95, v95, v17
	v_pk_add_f16 v23, v23, v26
	s_waitcnt lgkmcnt(0)
	v_pk_add_f16 v23, v23, v19
	v_pk_add_f16 v49, v23, v20
	ds_read2_b32 v[23:24], v31 offset0:238 offset1:255
	s_waitcnt lgkmcnt(0)
	s_barrier
	buffer_gl0_inv
	v_pk_add_f16 v49, v49, v27
	v_pk_add_f16 v49, v49, v28
	;; [unrolled: 1-line block ×3, first 2 shown]
	v_mov_b32_e32 v54, 0xb5c8
	v_pk_add_f16 v49, v49, v55
	v_pk_add_f16 v84, v24, v21
	v_pk_add_f16 v85, v21, v24 neg_lo:[0,1] neg_hi:[0,1]
	v_mul_f16_sdwa v18, v62, v54 dst_sel:DWORD dst_unused:UNUSED_PAD src0_sel:WORD_1 src1_sel:DWORD
	v_mul_f16_sdwa v21, v62, v66 dst_sel:DWORD dst_unused:UNUSED_PAD src0_sel:WORD_1 src1_sel:DWORD
	v_pk_add_f16 v56, v49, v23
	v_pk_add_f16 v49, v28, v25
	v_pk_add_f16 v28, v25, v28 neg_lo:[0,1] neg_hi:[0,1]
	v_fmamk_f16 v65, v63, 0x3b76, v18
	v_fma_f16 v67, v63, 0x3b76, -v18
	v_pk_add_f16 v86, v56, v24
	v_mul_f16_sdwa v18, v62, v61 dst_sel:DWORD dst_unused:UNUSED_PAD src0_sel:WORD_1 src1_sel:DWORD
	v_fmamk_f16 v74, v63, 0x3722, v21
	v_fma_f16 v75, v63, 0x3722, -v21
	v_mul_f16_sdwa v24, v62, v59 dst_sel:DWORD dst_unused:UNUSED_PAD src0_sel:WORD_1 src1_sel:DWORD
	v_mov_b32_e32 v21, 0xbbb2
	v_pk_add_f16 v25, v27, v26
	v_pk_add_f16 v26, v26, v27 neg_lo:[0,1] neg_hi:[0,1]
	v_pk_add_f16 v78, v23, v22
	v_mov_b32_e32 v55, 0x3b76
	v_pk_add_f16 v79, v22, v23 neg_lo:[0,1] neg_hi:[0,1]
	v_mov_b32_e32 v23, 0x39e9
	v_fmamk_f16 v70, v63, 0x39e9, v18
	v_fma_f16 v71, v63, 0x39e9, -v18
	v_mov_b32_e32 v18, 0x3722
	v_fmamk_f16 v80, v63, 0x2de8, v24
	v_mov_b32_e32 v22, 0xb461
	v_fma_f16 v81, v63, 0x2de8, -v24
	v_mul_f16_sdwa v27, v62, v21 dst_sel:DWORD dst_unused:UNUSED_PAD src0_sel:WORD_1 src1_sel:DWORD
	v_mov_b32_e32 v24, 0xb8d2
	v_mov_b32_e32 v56, 0xbacd
	v_mul_f16_sdwa v64, v63, v55 dst_sel:DWORD dst_unused:UNUSED_PAD src0_sel:WORD_1 src1_sel:DWORD
	v_mul_f16_sdwa v69, v63, v23 dst_sel:DWORD dst_unused:UNUSED_PAD src0_sel:WORD_1 src1_sel:DWORD
	;; [unrolled: 1-line block ×4, first 2 shown]
	v_fmamk_f16 v87, v63, 0xb461, v27
	v_fma_f16 v88, v63, 0xb461, -v27
	v_mul_f16_sdwa v90, v63, v24 dst_sel:DWORD dst_unused:UNUSED_PAD src0_sel:WORD_1 src1_sel:DWORD
	v_mov_b32_e32 v27, 0xba62
	v_mul_f16_sdwa v91, v63, v56 dst_sel:DWORD dst_unused:UNUSED_PAD src0_sel:WORD_1 src1_sel:DWORD
	v_fmamk_f16 v68, v62, 0x35c8, v64
	v_fmac_f16_e32 v64, 0xb5c8, v62
	v_fmamk_f16 v72, v62, 0x3964, v69
	v_fmac_f16_e32 v69, 0xb964, v62
	;; [unrolled: 2-line block ×5, first 2 shown]
	v_mul_f16_sdwa v93, v62, v27 dst_sel:DWORD dst_unused:UNUSED_PAD src0_sel:WORD_1 src1_sel:DWORD
	v_fmamk_f16 v94, v62, 0x3836, v91
	v_fmac_f16_e32 v91, 0xb836, v62
	v_pk_mul_f16 v62, 0xb1e1, v62 op_sel_hi:[0,1]
	v_mul_f16_sdwa v113, v85, v61 dst_sel:DWORD dst_unused:UNUSED_PAD src0_sel:WORD_1 src1_sel:DWORD
	v_add_f16_e32 v100, v67, v17
	v_mul_f16_sdwa v114, v84, v23 dst_sel:DWORD dst_unused:UNUSED_PAD src0_sel:WORD_1 src1_sel:DWORD
	v_mul_f16_sdwa v115, v85, v59 dst_sel:DWORD dst_unused:UNUSED_PAD src0_sel:WORD_1 src1_sel:DWORD
	v_pk_fma_f16 v98, 0xbbdd, v63, v62 op_sel:[0,0,1] op_sel_hi:[0,1,0]
	v_pk_fma_f16 v99, 0xbbdd, v63, v62 op_sel:[0,0,1] op_sel_hi:[0,1,0] neg_lo:[0,0,1] neg_hi:[0,0,1]
	v_add_f16_e32 v62, v65, v17
	v_fmamk_f16 v67, v84, 0x39e9, v113
	v_fmamk_f16 v96, v63, 0xb8d2, v93
	v_fma_f16 v93, v63, 0xb8d2, -v93
	v_add_f16_sdwa v63, v68, v17 dst_sel:DWORD dst_unused:UNUSED_PAD src0_sel:DWORD src1_sel:WORD_1
	v_add_f16_sdwa v101, v64, v17 dst_sel:DWORD dst_unused:UNUSED_PAD src0_sel:DWORD src1_sel:WORD_1
	v_add_f16_e32 v64, v70, v17
	v_fmamk_f16 v68, v85, 0x3964, v114
	v_add_f16_e32 v62, v67, v62
	v_fmamk_f16 v67, v84, 0x2de8, v115
	v_mul_f16_sdwa v116, v84, v60 dst_sel:DWORD dst_unused:UNUSED_PAD src0_sel:WORD_1 src1_sel:DWORD
	v_mul_f16_sdwa v117, v79, v66 dst_sel:DWORD dst_unused:UNUSED_PAD src0_sel:WORD_1 src1_sel:DWORD
	;; [unrolled: 1-line block ×4, first 2 shown]
	v_add_f16_sdwa v65, v72, v17 dst_sel:DWORD dst_unused:UNUSED_PAD src0_sel:DWORD src1_sel:WORD_1
	v_add_f16_sdwa v103, v69, v17 dst_sel:DWORD dst_unused:UNUSED_PAD src0_sel:DWORD src1_sel:WORD_1
	v_add_f16_e32 v63, v68, v63
	v_add_f16_e32 v64, v67, v64
	v_fmamk_f16 v67, v85, 0x3bf7, v116
	v_fmamk_f16 v68, v78, 0x3722, v117
	;; [unrolled: 1-line block ×4, first 2 shown]
	v_mul_f16_sdwa v120, v78, v24 dst_sel:DWORD dst_unused:UNUSED_PAD src0_sel:WORD_1 src1_sel:DWORD
	v_add_f16_e32 v65, v67, v65
	v_add_f16_e32 v62, v68, v62
	;; [unrolled: 1-line block ×4, first 2 shown]
	v_fmamk_f16 v69, v79, 0x3a62, v120
	v_mov_b32_e32 v64, 0xb1e1
	v_add_f16_e32 v108, v80, v17
	v_mov_b32_e32 v63, 0xbbdd
	v_fmamk_f16 v70, v53, 0x3bf7, v122
	v_add_f16_e32 v65, v69, v65
	v_fmamk_f16 v69, v52, 0x2de8, v121
	v_mul_f16_sdwa v123, v53, v64 dst_sel:DWORD dst_unused:UNUSED_PAD src0_sel:WORD_1 src1_sel:DWORD
	v_mul_f16_sdwa v82, v51, v21 dst_sel:DWORD dst_unused:UNUSED_PAD src0_sel:WORD_1 src1_sel:DWORD
	;; [unrolled: 1-line block ×3, first 2 shown]
	v_add_f16_e32 v102, v71, v17
	v_add_f16_e32 v62, v69, v62
	v_fmamk_f16 v69, v52, 0xbbdd, v123
	v_add_f16_sdwa v105, v76, v17 dst_sel:DWORD dst_unused:UNUSED_PAD src0_sel:DWORD src1_sel:WORD_1
	v_add_f16_sdwa v112, v83, v17 dst_sel:DWORD dst_unused:UNUSED_PAD src0_sel:DWORD src1_sel:WORD_1
	v_mul_f16_sdwa v124, v52, v63 dst_sel:DWORD dst_unused:UNUSED_PAD src0_sel:WORD_1 src1_sel:DWORD
	v_add_f16_e32 v67, v70, v67
	v_fmamk_f16 v71, v50, 0xb461, v82
	v_add_f16_e32 v68, v69, v68
	v_fmamk_f16 v69, v51, 0x3bb2, v80
	v_mul_f16_sdwa v83, v51, v125 dst_sel:DWORD dst_unused:UNUSED_PAD src0_sel:WORD_1 src1_sel:DWORD
	v_mul_f16_sdwa v76, v28, v27 dst_sel:DWORD dst_unused:UNUSED_PAD src0_sel:WORD_1 src1_sel:DWORD
	v_add_f16_e32 v104, v74, v17
	v_add_f16_e32 v110, v81, v17
	v_fmamk_f16 v70, v53, 0x31e1, v124
	v_add_f16_e32 v62, v71, v62
	v_mul_f16_sdwa v81, v50, v56 dst_sel:DWORD dst_unused:UNUSED_PAD src0_sel:WORD_1 src1_sel:DWORD
	v_mul_f16_sdwa v74, v49, v24 dst_sel:DWORD dst_unused:UNUSED_PAD src0_sel:WORD_1 src1_sel:DWORD
	v_add_f16_e32 v67, v69, v67
	v_fmamk_f16 v69, v50, 0xbacd, v83
	v_fmamk_f16 v71, v49, 0xb8d2, v76
	v_add_f16_e32 v106, v75, v17
	v_add_f16_e32 v65, v70, v65
	v_fmamk_f16 v70, v51, 0xb836, v81
	v_fmamk_f16 v72, v28, 0x3a62, v74
	v_add_f16_e32 v68, v69, v68
	v_add_f16_e32 v69, v71, v62
	v_mul_f16_sdwa v77, v28, v126 dst_sel:DWORD dst_unused:UNUSED_PAD src0_sel:WORD_1 src1_sel:DWORD
	v_mul_f16_sdwa v75, v49, v22 dst_sel:DWORD dst_unused:UNUSED_PAD src0_sel:WORD_1 src1_sel:DWORD
	;; [unrolled: 1-line block ×3, first 2 shown]
	v_mov_b32_e32 v62, 0x3b29
	v_add_f16_sdwa v107, v73, v17 dst_sel:DWORD dst_unused:UNUSED_PAD src0_sel:DWORD src1_sel:WORD_1
	v_add_f16_e32 v65, v70, v65
	v_add_f16_e32 v70, v72, v67
	v_mul_f16_sdwa v67, v25, v56 dst_sel:DWORD dst_unused:UNUSED_PAD src0_sel:WORD_1 src1_sel:DWORD
	v_fmamk_f16 v72, v49, 0xb461, v77
	v_fmamk_f16 v127, v28, 0xbbb2, v75
	;; [unrolled: 1-line block ×3, first 2 shown]
	v_mul_f16_sdwa v73, v26, v62 dst_sel:DWORD dst_unused:UNUSED_PAD src0_sel:WORD_1 src1_sel:DWORD
	v_fmamk_f16 v129, v26, 0x3836, v67
	v_add_f16_e32 v68, v72, v68
	v_add_f16_e32 v127, v127, v65
	;; [unrolled: 1-line block ×3, first 2 shown]
	v_fmamk_f16 v69, v25, 0x3722, v73
	v_mul_f16_sdwa v72, v25, v18 dst_sel:DWORD dst_unused:UNUSED_PAD src0_sel:WORD_1 src1_sel:DWORD
	v_pk_add_f16 v65, v19, v20 neg_lo:[0,1] neg_hi:[0,1]
	v_pk_add_f16 v19, v20, v19
	v_add_f16_e32 v129, v129, v70
	v_add_f16_e32 v131, v69, v68
	v_fmamk_f16 v132, v26, 0xbb29, v72
	v_mul_f16_sdwa v70, v65, v64 dst_sel:DWORD dst_unused:UNUSED_PAD src0_sel:WORD_1 src1_sel:DWORD
	v_mul_f16_sdwa v68, v65, v130 dst_sel:DWORD dst_unused:UNUSED_PAD src0_sel:WORD_1 src1_sel:DWORD
	;; [unrolled: 1-line block ×4, first 2 shown]
	v_add_f16_e32 v127, v132, v127
	v_fmamk_f16 v132, v19, 0xbbdd, v70
	v_fmamk_f16 v133, v19, 0x3b76, v68
	;; [unrolled: 1-line block ×4, first 2 shown]
	v_add_f16_e32 v87, v87, v17
	v_add_f16_e32 v128, v132, v128
	v_add_f16_e32 v131, v133, v131
	v_add_f16_e32 v127, v134, v127
	v_add_f16_e32 v129, v135, v129
	v_add_f16_sdwa v89, v89, v17 dst_sel:DWORD dst_unused:UNUSED_PAD src0_sel:DWORD src1_sel:WORD_1
	v_add_f16_e32 v88, v88, v17
	v_add_f16_e32 v96, v96, v17
	v_add_f16_sdwa v92, v92, v17 dst_sel:DWORD dst_unused:UNUSED_PAD src0_sel:DWORD src1_sel:WORD_1
	v_add_f16_e32 v93, v93, v17
	v_add_f16_sdwa v90, v90, v17 dst_sel:DWORD dst_unused:UNUSED_PAD src0_sel:DWORD src1_sel:WORD_1
	v_add_f16_sdwa v94, v94, v17 dst_sel:DWORD dst_unused:UNUSED_PAD src0_sel:DWORD src1_sel:WORD_1
	;; [unrolled: 1-line block ×3, first 2 shown]
	v_pk_add_f16 v98, v98, v17
	v_pk_add_f16 v99, v99, v17
	v_pack_b32_f16 v17, v131, v127
	v_pack_b32_f16 v127, v128, v129
	v_fma_f16 v113, v84, 0x39e9, -v113
	v_fmac_f16_e32 v114, 0xb964, v85
	v_fmac_f16_e32 v116, 0xbbf7, v85
	;; [unrolled: 1-line block ×3, first 2 shown]
	ds_write2_b32 v48, v127, v17 offset0:1 offset1:2
	v_pk_add_f16 v17, v86, v58
	v_add_f16_e32 v58, v113, v100
	v_mul_f16_sdwa v86, v85, v27 dst_sel:DWORD dst_unused:UNUSED_PAD src0_sel:WORD_1 src1_sel:DWORD
	v_fma_f16 v100, v84, 0x2de8, -v115
	v_mul_f16_sdwa v113, v84, v24 dst_sel:DWORD dst_unused:UNUSED_PAD src0_sel:WORD_1 src1_sel:DWORD
	v_add_f16_e32 v101, v114, v101
	v_mul_f16_sdwa v115, v85, v64 dst_sel:DWORD dst_unused:UNUSED_PAD src0_sel:WORD_1 src1_sel:DWORD
	v_fmamk_f16 v114, v84, 0xb8d2, v86
	v_add_f16_e32 v100, v100, v102
	v_add_f16_e32 v102, v116, v103
	v_fmamk_f16 v103, v85, 0x3a62, v113
	v_fma_f16 v86, v84, 0xb8d2, -v86
	v_add_f16_e32 v104, v114, v104
	v_fmac_f16_e32 v113, 0xba62, v85
	v_mul_f16_sdwa v114, v84, v63 dst_sel:DWORD dst_unused:UNUSED_PAD src0_sel:WORD_1 src1_sel:DWORD
	v_add_f16_e32 v103, v103, v105
	v_fmamk_f16 v105, v84, 0xbbdd, v115
	v_add_f16_e32 v86, v86, v106
	v_add_f16_e32 v106, v113, v107
	v_mul_f16_sdwa v107, v85, v125 dst_sel:DWORD dst_unused:UNUSED_PAD src0_sel:WORD_1 src1_sel:DWORD
	v_fma_f16 v113, v84, 0xbbdd, -v115
	v_add_f16_e32 v105, v105, v108
	v_fmamk_f16 v108, v85, 0x31e1, v114
	v_fmac_f16_e32 v114, 0xb1e1, v85
	v_mul_f16_sdwa v116, v84, v56 dst_sel:DWORD dst_unused:UNUSED_PAD src0_sel:WORD_1 src1_sel:DWORD
	v_fmamk_f16 v115, v84, 0xbacd, v107
	v_fma_f16 v107, v84, 0xbacd, -v107
	v_add_f16_e32 v108, v108, v109
	v_add_f16_e32 v109, v113, v110
	;; [unrolled: 1-line block ×3, first 2 shown]
	v_fmamk_f16 v111, v85, 0xb836, v116
	v_mul_f16_sdwa v113, v85, v126 dst_sel:DWORD dst_unused:UNUSED_PAD src0_sel:WORD_1 src1_sel:DWORD
	v_fmac_f16_e32 v116, 0x3836, v85
	v_mul_f16_sdwa v114, v84, v22 dst_sel:DWORD dst_unused:UNUSED_PAD src0_sel:WORD_1 src1_sel:DWORD
	v_add_f16_e32 v87, v115, v87
	v_add_f16_e32 v89, v111, v89
	v_fmamk_f16 v111, v84, 0xb461, v113
	v_add_f16_e32 v88, v107, v88
	v_add_f16_e32 v107, v116, v112
	v_fmamk_f16 v112, v85, 0xbbb2, v114
	v_mul_f16_sdwa v115, v85, v62 dst_sel:DWORD dst_unused:UNUSED_PAD src0_sel:WORD_1 src1_sel:DWORD
	v_add_f16_e32 v96, v111, v96
	v_fma_f16 v111, v84, 0xb461, -v113
	v_mul_f16_sdwa v113, v84, v18 dst_sel:DWORD dst_unused:UNUSED_PAD src0_sel:WORD_1 src1_sel:DWORD
	v_add_f16_e32 v92, v112, v92
	v_fmamk_f16 v112, v84, 0x3722, v115
	v_fmac_f16_e32 v114, 0x3bb2, v85
	v_add_f16_e32 v93, v111, v93
	v_pk_mul_f16 v111, 0x35c8, v85 op_sel_hi:[0,1]
	v_fmac_f16_e32 v120, 0xba62, v79
	v_add_f16_e32 v97, v112, v97
	v_fmamk_f16 v112, v85, 0xbb29, v113
	v_fmac_f16_e32 v113, 0x3b29, v85
	v_pk_fma_f16 v85, 0x3b76, v84, v111 op_sel:[0,0,1] op_sel_hi:[0,1,0]
	v_add_f16_e32 v90, v114, v90
	v_fma_f16 v114, v84, 0x3722, -v115
	v_add_f16_e32 v94, v112, v94
	v_mov_b32_e32 v112, 0x31e1
	v_pk_fma_f16 v84, 0x3b76, v84, v111 op_sel:[0,0,1] op_sel_hi:[0,1,0] neg_lo:[0,0,1] neg_hi:[0,0,1]
	v_fma_f16 v111, v78, 0x3722, -v117
	v_pk_add_f16 v85, v85, v98
	v_add_f16_e32 v95, v114, v95
	v_mul_f16_sdwa v98, v79, v112 dst_sel:DWORD dst_unused:UNUSED_PAD src0_sel:WORD_1 src1_sel:DWORD
	v_pk_add_f16 v84, v84, v99
	v_add_f16_e32 v58, v111, v58
	v_mul_f16_sdwa v99, v78, v63 dst_sel:DWORD dst_unused:UNUSED_PAD src0_sel:WORD_1 src1_sel:DWORD
	v_fma_f16 v111, v78, 0xb8d2, -v119
	v_fmamk_f16 v112, v78, 0xbbdd, v98
	v_add_f16_e32 v91, v113, v91
	v_fma_f16 v98, v78, 0xbbdd, -v98
	v_fmamk_f16 v113, v79, 0xb1e1, v99
	v_add_f16_e32 v100, v111, v100
	v_add_f16_e32 v104, v112, v104
	v_mul_f16_sdwa v111, v79, v126 dst_sel:DWORD dst_unused:UNUSED_PAD src0_sel:WORD_1 src1_sel:DWORD
	v_fmac_f16_e32 v99, 0x31e1, v79
	v_mov_b32_e32 v112, 0x3964
	v_mul_f16_sdwa v114, v78, v22 dst_sel:DWORD dst_unused:UNUSED_PAD src0_sel:WORD_1 src1_sel:DWORD
	v_add_f16_e32 v103, v113, v103
	v_fmamk_f16 v113, v78, 0xb461, v111
	v_add_f16_e32 v86, v98, v86
	v_add_f16_e32 v98, v99, v106
	v_mul_f16_sdwa v99, v79, v112 dst_sel:DWORD dst_unused:UNUSED_PAD src0_sel:WORD_1 src1_sel:DWORD
	v_fmamk_f16 v106, v79, 0xbbb2, v114
	v_fma_f16 v111, v78, 0xb461, -v111
	v_fmac_f16_e32 v114, 0x3bb2, v79
	v_mul_f16_sdwa v115, v78, v23 dst_sel:DWORD dst_unused:UNUSED_PAD src0_sel:WORD_1 src1_sel:DWORD
	v_add_f16_e32 v105, v113, v105
	v_fmamk_f16 v113, v78, 0x39e9, v99
	v_add_f16_e32 v106, v106, v108
	v_add_f16_e32 v108, v111, v109
	v_add_f16_e32 v109, v114, v110
	v_fmamk_f16 v110, v79, 0xb964, v115
	v_mul_f16_sdwa v111, v79, v54 dst_sel:DWORD dst_unused:UNUSED_PAD src0_sel:WORD_1 src1_sel:DWORD
	v_add_f16_e32 v87, v113, v87
	v_fma_f16 v99, v78, 0x39e9, -v99
	v_fmac_f16_e32 v115, 0x3964, v79
	v_mul_f16_sdwa v113, v78, v55 dst_sel:DWORD dst_unused:UNUSED_PAD src0_sel:WORD_1 src1_sel:DWORD
	v_add_f16_e32 v89, v110, v89
	v_fmamk_f16 v110, v78, 0x3b76, v111
	v_add_f16_e32 v88, v99, v88
	v_add_f16_e32 v99, v115, v107
	v_fmamk_f16 v107, v79, 0x35c8, v113
	v_mul_f16_sdwa v114, v79, v59 dst_sel:DWORD dst_unused:UNUSED_PAD src0_sel:WORD_1 src1_sel:DWORD
	v_add_f16_e32 v96, v110, v96
	v_fma_f16 v110, v78, 0x3b76, -v111
	v_fmac_f16_e32 v113, 0xb5c8, v79
	v_add_f16_e32 v92, v107, v92
	v_fmamk_f16 v107, v78, 0x2de8, v114
	v_mul_f16_sdwa v111, v78, v60 dst_sel:DWORD dst_unused:UNUSED_PAD src0_sel:WORD_1 src1_sel:DWORD
	v_add_f16_e32 v93, v110, v93
	v_pk_mul_f16 v110, 0xb836, v79 op_sel_hi:[0,1]
	v_add_f16_e32 v90, v113, v90
	v_add_f16_e32 v97, v107, v97
	v_fmamk_f16 v107, v79, 0x3bf7, v111
	v_fma_f16 v113, v78, 0x2de8, -v114
	v_fmac_f16_e32 v111, 0xbbf7, v79
	v_pk_fma_f16 v79, 0xbacd, v78, v110 op_sel:[0,0,1] op_sel_hi:[0,1,0]
	v_pk_fma_f16 v78, 0xbacd, v78, v110 op_sel:[0,0,1] op_sel_hi:[0,1,0] neg_lo:[0,0,1] neg_hi:[0,0,1]
	v_add_f16_e32 v94, v107, v94
	v_fma_f16 v107, v52, 0x2de8, -v121
	v_mul_f16_sdwa v110, v53, v130 dst_sel:DWORD dst_unused:UNUSED_PAD src0_sel:WORD_1 src1_sel:DWORD
	v_pk_add_f16 v79, v79, v85
	v_pk_add_f16 v78, v78, v84
	v_fma_f16 v84, v52, 0xbbdd, -v123
	v_mul_f16_sdwa v85, v53, v126 dst_sel:DWORD dst_unused:UNUSED_PAD src0_sel:WORD_1 src1_sel:DWORD
	v_add_f16_e32 v58, v107, v58
	v_mul_f16_sdwa v107, v52, v22 dst_sel:DWORD dst_unused:UNUSED_PAD src0_sel:WORD_1 src1_sel:DWORD
	v_add_f16_e32 v91, v111, v91
	v_add_f16_e32 v84, v84, v100
	v_fmamk_f16 v100, v52, 0xb461, v85
	v_fma_f16 v85, v52, 0xb461, -v85
	v_fmamk_f16 v111, v53, 0xbbb2, v107
	v_fmac_f16_e32 v107, 0x3bb2, v53
	v_add_f16_e32 v95, v113, v95
	v_add_f16_e32 v100, v100, v104
	v_fmamk_f16 v104, v52, 0x3b76, v110
	v_add_f16_e32 v85, v85, v86
	v_mul_f16_sdwa v86, v52, v55 dst_sel:DWORD dst_unused:UNUSED_PAD src0_sel:WORD_1 src1_sel:DWORD
	v_add_f16_e32 v103, v111, v103
	v_add_f16_e32 v98, v107, v98
	;; [unrolled: 1-line block ×3, first 2 shown]
	v_mul_f16_sdwa v105, v53, v66 dst_sel:DWORD dst_unused:UNUSED_PAD src0_sel:WORD_1 src1_sel:DWORD
	v_mul_f16_sdwa v107, v52, v18 dst_sel:DWORD dst_unused:UNUSED_PAD src0_sel:WORD_1 src1_sel:DWORD
	v_fmamk_f16 v111, v53, 0xb5c8, v86
	v_fma_f16 v110, v52, 0x3b76, -v110
	v_fmac_f16_e32 v86, 0x35c8, v53
	v_fmamk_f16 v113, v52, 0x3722, v105
	v_fmamk_f16 v114, v53, 0x3b29, v107
	v_add_f16_e32 v106, v111, v106
	v_add_f16_e32 v108, v110, v108
	v_add_f16_e32 v86, v86, v109
	v_mul_f16_sdwa v109, v53, v57 dst_sel:DWORD dst_unused:UNUSED_PAD src0_sel:WORD_1 src1_sel:DWORD
	v_fma_f16 v105, v52, 0x3722, -v105
	v_fmac_f16_e32 v107, 0xbb29, v53
	v_mul_f16_sdwa v110, v52, v56 dst_sel:DWORD dst_unused:UNUSED_PAD src0_sel:WORD_1 src1_sel:DWORD
	v_mov_b32_e32 v111, 0x3a62
	v_add_f16_e32 v87, v113, v87
	v_fmamk_f16 v113, v52, 0xbacd, v109
	v_add_f16_e32 v88, v105, v88
	v_add_f16_e32 v99, v107, v99
	v_fmamk_f16 v105, v53, 0x3836, v110
	v_mul_f16_sdwa v107, v53, v111 dst_sel:DWORD dst_unused:UNUSED_PAD src0_sel:WORD_1 src1_sel:DWORD
	v_fma_f16 v109, v52, 0xbacd, -v109
	v_add_f16_e32 v96, v113, v96
	v_mul_f16_sdwa v113, v52, v24 dst_sel:DWORD dst_unused:UNUSED_PAD src0_sel:WORD_1 src1_sel:DWORD
	v_add_f16_e32 v92, v105, v92
	v_fmamk_f16 v105, v52, 0xb8d2, v107
	v_add_f16_e32 v93, v109, v93
	v_pk_mul_f16 v109, 0x3964, v53 op_sel_hi:[0,1]
	v_fmac_f16_e32 v122, 0xbbf7, v53
	v_fmac_f16_e32 v124, 0xb1e1, v53
	;; [unrolled: 1-line block ×3, first 2 shown]
	v_add_f16_e32 v97, v105, v97
	v_fmamk_f16 v105, v53, 0xba62, v113
	v_fma_f16 v107, v52, 0xb8d2, -v107
	v_fmac_f16_e32 v113, 0x3a62, v53
	v_pk_fma_f16 v53, 0x39e9, v52, v109 op_sel:[0,0,1] op_sel_hi:[0,1,0]
	v_pk_fma_f16 v52, 0x39e9, v52, v109 op_sel:[0,0,1] op_sel_hi:[0,1,0] neg_lo:[0,0,1] neg_hi:[0,0,1]
	v_fma_f16 v82, v50, 0xb461, -v82
	v_add_f16_e32 v101, v118, v101
	v_add_f16_e32 v102, v120, v102
	v_pk_add_f16 v53, v53, v79
	v_pk_add_f16 v52, v52, v78
	v_mul_f16_sdwa v78, v51, v112 dst_sel:DWORD dst_unused:UNUSED_PAD src0_sel:WORD_1 src1_sel:DWORD
	v_add_f16_e32 v58, v82, v58
	v_add_f16_e32 v101, v122, v101
	;; [unrolled: 1-line block ×3, first 2 shown]
	v_fmac_f16_e32 v80, 0xbbb2, v51
	v_fmamk_f16 v82, v50, 0x39e9, v78
	v_fma_f16 v79, v50, 0xbacd, -v83
	v_fmac_f16_e32 v81, 0x3836, v51
	v_mul_f16_sdwa v83, v50, v23 dst_sel:DWORD dst_unused:UNUSED_PAD src0_sel:WORD_1 src1_sel:DWORD
	v_mul_f16_sdwa v66, v51, v66 dst_sel:DWORD dst_unused:UNUSED_PAD src0_sel:WORD_1 src1_sel:DWORD
	v_add_f16_e32 v82, v82, v100
	v_mul_f16_sdwa v100, v50, v18 dst_sel:DWORD dst_unused:UNUSED_PAD src0_sel:WORD_1 src1_sel:DWORD
	v_fma_f16 v78, v50, 0x39e9, -v78
	v_add_f16_e32 v80, v80, v101
	v_add_f16_e32 v79, v79, v84
	;; [unrolled: 1-line block ×3, first 2 shown]
	v_fmamk_f16 v84, v51, 0xb964, v83
	v_fmac_f16_e32 v83, 0x3964, v51
	v_fmamk_f16 v101, v50, 0x3722, v66
	v_fmamk_f16 v102, v51, 0x3b29, v100
	v_add_f16_e32 v78, v78, v85
	v_mul_f16_sdwa v85, v51, v64 dst_sel:DWORD dst_unused:UNUSED_PAD src0_sel:WORD_1 src1_sel:DWORD
	v_add_f16_e32 v84, v84, v103
	v_add_f16_e32 v83, v83, v98
	v_add_f16_e32 v98, v101, v104
	v_add_f16_e32 v101, v102, v106
	v_fmac_f16_e32 v100, 0xbb29, v51
	v_fmamk_f16 v102, v50, 0xbbdd, v85
	v_mul_f16_sdwa v103, v50, v63 dst_sel:DWORD dst_unused:UNUSED_PAD src0_sel:WORD_1 src1_sel:DWORD
	v_mov_b32_e32 v104, 0x3bf7
	v_add_f16_e32 v89, v114, v89
	v_add_f16_e32 v86, v100, v86
	;; [unrolled: 1-line block ×3, first 2 shown]
	v_fmamk_f16 v100, v51, 0x31e1, v103
	v_mul_f16_sdwa v102, v51, v104 dst_sel:DWORD dst_unused:UNUSED_PAD src0_sel:WORD_1 src1_sel:DWORD
	v_add_f16_e32 v94, v105, v94
	v_fma_f16 v85, v50, 0xbbdd, -v85
	v_fmac_f16_e32 v103, 0xb1e1, v51
	v_mul_f16_sdwa v105, v50, v60 dst_sel:DWORD dst_unused:UNUSED_PAD src0_sel:WORD_1 src1_sel:DWORD
	v_add_f16_e32 v89, v100, v89
	v_fmamk_f16 v100, v50, 0x2de8, v102
	v_add_f16_e32 v85, v85, v88
	v_add_f16_e32 v88, v103, v99
	v_fmamk_f16 v99, v51, 0xbbf7, v105
	v_mul_f16_sdwa v103, v51, v54 dst_sel:DWORD dst_unused:UNUSED_PAD src0_sel:WORD_1 src1_sel:DWORD
	v_add_f16_e32 v96, v100, v96
	v_fma_f16 v100, v50, 0x2de8, -v102
	v_mul_f16_sdwa v102, v50, v55 dst_sel:DWORD dst_unused:UNUSED_PAD src0_sel:WORD_1 src1_sel:DWORD
	v_add_f16_e32 v92, v99, v92
	v_fmamk_f16 v99, v50, 0x3b76, v103
	v_fma_f16 v66, v50, 0x3722, -v66
	v_add_f16_e32 v93, v100, v93
	v_pk_mul_f16 v100, 0xba62, v51 op_sel_hi:[0,1]
	v_fmac_f16_e32 v105, 0x3bf7, v51
	v_add_f16_e32 v97, v99, v97
	v_fmamk_f16 v99, v51, 0x35c8, v102
	v_fmac_f16_e32 v102, 0xb5c8, v51
	v_fma_f16 v51, v50, 0x3b76, -v103
	v_pk_fma_f16 v103, 0xb8d2, v50, v100 op_sel:[0,0,1] op_sel_hi:[0,1,0]
	v_pk_fma_f16 v50, 0xb8d2, v50, v100 op_sel:[0,0,1] op_sel_hi:[0,1,0] neg_lo:[0,0,1] neg_hi:[0,0,1]
	v_fma_f16 v76, v49, 0xb8d2, -v76
	v_fmac_f16_e32 v74, 0xba62, v28
	v_fmac_f16_e32 v75, 0x3bb2, v28
	v_add_f16_e32 v95, v107, v95
	v_pk_add_f16 v50, v50, v52
	v_add_f16_e32 v52, v76, v58
	v_mul_f16_sdwa v58, v28, v54 dst_sel:DWORD dst_unused:UNUSED_PAD src0_sel:WORD_1 src1_sel:DWORD
	v_fma_f16 v76, v49, 0xb461, -v77
	v_mul_f16_sdwa v77, v49, v55 dst_sel:DWORD dst_unused:UNUSED_PAD src0_sel:WORD_1 src1_sel:DWORD
	v_add_f16_e32 v74, v74, v80
	v_add_f16_e32 v75, v75, v81
	v_fmamk_f16 v80, v49, 0x3b76, v58
	v_add_f16_e32 v76, v76, v79
	v_fmamk_f16 v79, v28, 0x35c8, v77
	v_mul_f16_sdwa v81, v28, v57 dst_sel:DWORD dst_unused:UNUSED_PAD src0_sel:WORD_1 src1_sel:DWORD
	v_fma_f16 v58, v49, 0x3b76, -v58
	v_add_f16_e32 v80, v80, v82
	v_fmac_f16_e32 v77, 0xb5c8, v28
	v_add_f16_e32 v79, v79, v84
	v_fmamk_f16 v82, v49, 0xbacd, v81
	v_mul_f16_sdwa v84, v49, v56 dst_sel:DWORD dst_unused:UNUSED_PAD src0_sel:WORD_1 src1_sel:DWORD
	v_add_f16_e32 v58, v58, v78
	v_mul_f16_sdwa v78, v28, v104 dst_sel:DWORD dst_unused:UNUSED_PAD src0_sel:WORD_1 src1_sel:DWORD
	v_add_f16_e32 v66, v66, v108
	v_add_f16_e32 v51, v51, v95
	;; [unrolled: 1-line block ×4, first 2 shown]
	v_fmamk_f16 v83, v28, 0x3836, v84
	v_fma_f16 v81, v49, 0xbacd, -v81
	v_fmac_f16_e32 v84, 0xb836, v28
	v_fmamk_f16 v95, v49, 0x2de8, v78
	v_mul_f16_sdwa v98, v49, v60 dst_sel:DWORD dst_unused:UNUSED_PAD src0_sel:WORD_1 src1_sel:DWORD
	v_add_f16_e32 v90, v110, v90
	v_add_f16_e32 v66, v81, v66
	;; [unrolled: 1-line block ×4, first 2 shown]
	v_fmamk_f16 v86, v28, 0xbbf7, v98
	v_mul_f16_sdwa v61, v28, v61 dst_sel:DWORD dst_unused:UNUSED_PAD src0_sel:WORD_1 src1_sel:DWORD
	v_fma_f16 v78, v49, 0x2de8, -v78
	v_fmac_f16_e32 v98, 0x3bf7, v28
	v_mul_f16_sdwa v87, v49, v23 dst_sel:DWORD dst_unused:UNUSED_PAD src0_sel:WORD_1 src1_sel:DWORD
	v_add_f16_e32 v90, v105, v90
	v_add_f16_e32 v86, v86, v89
	v_fmamk_f16 v89, v49, 0x39e9, v61
	v_add_f16_e32 v78, v78, v85
	v_add_f16_e32 v85, v98, v88
	v_fmamk_f16 v88, v28, 0x3964, v87
	v_fmac_f16_e32 v87, 0xb964, v28
	v_mul_f16_sdwa v95, v28, v64 dst_sel:DWORD dst_unused:UNUSED_PAD src0_sel:WORD_1 src1_sel:DWORD
	v_add_f16_e32 v89, v89, v96
	v_fma_f16 v61, v49, 0x39e9, -v61
	v_mul_f16_sdwa v96, v49, v63 dst_sel:DWORD dst_unused:UNUSED_PAD src0_sel:WORD_1 src1_sel:DWORD
	v_add_f16_e32 v87, v87, v90
	v_pk_mul_f16 v90, 0x3b29, v28 op_sel_hi:[0,1]
	v_add_f16_e32 v88, v88, v92
	v_fmamk_f16 v92, v49, 0xbbdd, v95
	v_add_f16_e32 v61, v61, v93
	v_fmamk_f16 v93, v28, 0x31e1, v96
	v_fmac_f16_e32 v96, 0xb1e1, v28
	v_fma_f16 v28, v49, 0xbbdd, -v95
	v_pk_fma_f16 v95, 0x3722, v49, v90 op_sel:[0,0,1] op_sel_hi:[0,1,0]
	v_pk_fma_f16 v49, 0x3722, v49, v90 op_sel:[0,0,1] op_sel_hi:[0,1,0] neg_lo:[0,0,1] neg_hi:[0,0,1]
	v_fma_f16 v71, v25, 0xbacd, -v71
	v_fmac_f16_e32 v67, 0xb836, v26
	v_mul_f16_sdwa v60, v25, v60 dst_sel:DWORD dst_unused:UNUSED_PAD src0_sel:WORD_1 src1_sel:DWORD
	v_fmac_f16_e32 v72, 0x3b29, v26
	v_pk_add_f16 v49, v49, v50
	v_add_f16_e32 v50, v71, v52
	v_mul_f16_sdwa v52, v26, v59 dst_sel:DWORD dst_unused:UNUSED_PAD src0_sel:WORD_1 src1_sel:DWORD
	v_fma_f16 v59, v25, 0x3722, -v73
	v_add_f16_e32 v67, v67, v74
	v_fmamk_f16 v73, v26, 0x3bf7, v60
	v_mul_f16_sdwa v74, v26, v111 dst_sel:DWORD dst_unused:UNUSED_PAD src0_sel:WORD_1 src1_sel:DWORD
	v_mul_f16_sdwa v64, v26, v64 dst_sel:DWORD dst_unused:UNUSED_PAD src0_sel:WORD_1 src1_sel:DWORD
	v_add_f16_e32 v91, v113, v91
	v_fmamk_f16 v71, v25, 0x2de8, v52
	v_add_f16_e32 v59, v59, v76
	v_add_f16_e32 v72, v72, v75
	v_fma_f16 v52, v25, 0x2de8, -v52
	v_fmac_f16_e32 v60, 0xbbf7, v26
	v_add_f16_e32 v73, v73, v79
	v_fmamk_f16 v75, v25, 0xb8d2, v74
	v_mul_f16_sdwa v76, v25, v24 dst_sel:DWORD dst_unused:UNUSED_PAD src0_sel:WORD_1 src1_sel:DWORD
	v_mul_f16_sdwa v54, v26, v54 dst_sel:DWORD dst_unused:UNUSED_PAD src0_sel:WORD_1 src1_sel:DWORD
	v_fmamk_f16 v79, v25, 0xbbdd, v64
	v_fma_f16 v64, v25, 0xbbdd, -v64
	v_add_f16_e32 v91, v102, v91
	v_pk_add_f16 v53, v103, v53
	v_add_f16_e32 v83, v83, v101
	v_add_f16_e32 v71, v71, v80
	;; [unrolled: 1-line block ×5, first 2 shown]
	v_fmamk_f16 v75, v26, 0xba62, v76
	v_fma_f16 v74, v25, 0xb8d2, -v74
	v_fmac_f16_e32 v76, 0x3a62, v26
	v_fmamk_f16 v77, v25, 0x3b76, v54
	v_mul_f16_sdwa v55, v25, v55 dst_sel:DWORD dst_unused:UNUSED_PAD src0_sel:WORD_1 src1_sel:DWORD
	v_fma_f16 v54, v25, 0x3b76, -v54
	v_mul_f16_sdwa v63, v25, v63 dst_sel:DWORD dst_unused:UNUSED_PAD src0_sel:WORD_1 src1_sel:DWORD
	v_mul_f16_sdwa v80, v26, v112 dst_sel:DWORD dst_unused:UNUSED_PAD src0_sel:WORD_1 src1_sel:DWORD
	;; [unrolled: 1-line block ×3, first 2 shown]
	v_add_f16_e32 v61, v64, v61
	v_pk_mul_f16 v64, 0xbbb2, v26 op_sel_hi:[0,1]
	v_add_f16_e32 v28, v28, v51
	v_add_f16_e32 v51, v96, v91
	v_pk_add_f16 v53, v95, v53
	v_add_f16_e32 v75, v75, v83
	v_add_f16_e32 v66, v74, v66
	;; [unrolled: 1-line block ×4, first 2 shown]
	v_fmamk_f16 v77, v26, 0x35c8, v55
	v_fmac_f16_e32 v55, 0xb5c8, v26
	v_add_f16_e32 v54, v54, v78
	v_fmamk_f16 v78, v26, 0x31e1, v63
	v_fmac_f16_e32 v63, 0xb1e1, v26
	v_fmamk_f16 v81, v25, 0x39e9, v80
	v_fmamk_f16 v83, v26, 0xb964, v82
	v_fmac_f16_e32 v82, 0x3964, v26
	v_fma_f16 v26, v25, 0x39e9, -v80
	v_pk_fma_f16 v80, 0xb461, v25, v64 op_sel:[0,0,1] op_sel_hi:[0,1,0]
	v_pk_fma_f16 v25, 0xb461, v25, v64 op_sel:[0,0,1] op_sel_hi:[0,1,0] neg_lo:[0,0,1] neg_hi:[0,0,1]
	v_fma_f16 v70, v19, 0xbbdd, -v70
	v_fmac_f16_e32 v69, 0xb1e1, v65
	v_add_f16_e32 v26, v26, v28
	v_add_f16_e32 v28, v82, v51
	v_pk_add_f16 v51, v80, v53
	v_pk_add_f16 v25, v25, v49
	v_add_f16_e32 v49, v70, v50
	v_mul_f16_sdwa v50, v65, v57 dst_sel:DWORD dst_unused:UNUSED_PAD src0_sel:WORD_1 src1_sel:DWORD
	v_fma_f16 v53, v19, 0x3b76, -v68
	v_mul_f16_sdwa v56, v19, v56 dst_sel:DWORD dst_unused:UNUSED_PAD src0_sel:WORD_1 src1_sel:DWORD
	v_mul_f16_sdwa v68, v65, v112 dst_sel:DWORD dst_unused:UNUSED_PAD src0_sel:WORD_1 src1_sel:DWORD
	v_add_f16_e32 v57, v69, v67
	v_fmamk_f16 v67, v19, 0xbacd, v50
	v_add_f16_e32 v53, v53, v59
	v_fmamk_f16 v59, v65, 0x3836, v56
	v_fma_f16 v50, v19, 0xbacd, -v50
	v_fmac_f16_e32 v56, 0xb836, v65
	v_fmamk_f16 v69, v19, 0x39e9, v68
	v_mul_f16_sdwa v27, v65, v27 dst_sel:DWORD dst_unused:UNUSED_PAD src0_sel:WORD_1 src1_sel:DWORD
	v_mul_f16_sdwa v62, v65, v62 dst_sel:DWORD dst_unused:UNUSED_PAD src0_sel:WORD_1 src1_sel:DWORD
	v_add_f16_e32 v50, v50, v52
	v_add_f16_e32 v52, v56, v58
	;; [unrolled: 1-line block ×3, first 2 shown]
	v_fma_f16 v60, v19, 0x39e9, -v68
	v_fmamk_f16 v68, v19, 0xb8d2, v27
	v_fma_f16 v27, v19, 0xb8d2, -v27
	v_add_f16_e32 v94, v99, v94
	v_mul_f16_sdwa v24, v19, v24 dst_sel:DWORD dst_unused:UNUSED_PAD src0_sel:WORD_1 src1_sel:DWORD
	v_mul_f16_sdwa v18, v19, v18 dst_sel:DWORD dst_unused:UNUSED_PAD src0_sel:WORD_1 src1_sel:DWORD
	;; [unrolled: 1-line block ×3, first 2 shown]
	v_add_f16_e32 v27, v27, v54
	v_fma_f16 v54, v19, 0x3722, -v62
	v_add_f16_e32 v92, v92, v97
	v_add_f16_e32 v90, v93, v94
	;; [unrolled: 1-line block ×7, first 2 shown]
	v_fmamk_f16 v68, v65, 0x3a62, v24
	v_fmac_f16_e32 v24, 0xba62, v65
	v_fmamk_f16 v69, v19, 0x3722, v62
	v_fmamk_f16 v70, v65, 0xbb29, v18
	v_mul_f16_sdwa v21, v65, v21 dst_sel:DWORD dst_unused:UNUSED_PAD src0_sel:WORD_1 src1_sel:DWORD
	v_mul_f16_sdwa v22, v19, v22 dst_sel:DWORD dst_unused:UNUSED_PAD src0_sel:WORD_1 src1_sel:DWORD
	v_add_f16_e32 v63, v63, v87
	v_fmamk_f16 v58, v65, 0xb964, v23
	v_add_f16_e32 v54, v54, v61
	v_fmac_f16_e32 v18, 0x3b29, v65
	v_pk_mul_f16 v61, 0x3bf7, v65 op_sel_hi:[0,1]
	v_add_f16_e32 v77, v77, v86
	v_add_f16_e32 v81, v81, v92
	;; [unrolled: 1-line block ×6, first 2 shown]
	v_fmamk_f16 v69, v19, 0xb461, v21
	v_fmamk_f16 v70, v65, 0x3bb2, v22
	v_add_f16_e32 v67, v67, v71
	v_add_f16_e32 v59, v59, v73
	;; [unrolled: 1-line block ×3, first 2 shown]
	v_fma_f16 v21, v19, 0xb461, -v21
	v_add_f16_e32 v18, v18, v63
	v_pk_fma_f16 v63, 0x2de8, v19, v61 op_sel:[0,0,1] op_sel_hi:[0,1,0]
	v_pk_fma_f16 v19, 0x2de8, v19, v61 op_sel:[0,0,1] op_sel_hi:[0,1,0] neg_lo:[0,0,1] neg_hi:[0,0,1]
	v_add_f16_e32 v68, v68, v77
	v_fmac_f16_e32 v22, 0xbbb2, v65
	v_fmac_f16_e32 v23, 0x3964, v65
	v_add_f16_e32 v69, v69, v81
	v_add_f16_e32 v64, v70, v64
	v_fmac_f16_e32 v20, 0x35c8, v65
	v_add_f16_e32 v21, v21, v26
	v_pk_add_f16 v26, v63, v51
	v_pack_b32_f16 v51, v56, v58
	v_pack_b32_f16 v56, v67, v59
	v_pk_add_f16 v19, v19, v25
	v_pack_b32_f16 v55, v55, v62
	v_pack_b32_f16 v58, v66, v68
	v_add_f16_e32 v22, v22, v28
	v_add_f16_e32 v23, v23, v74
	v_pack_b32_f16 v59, v69, v64
	v_add_f16_e32 v20, v20, v72
	ds_write2_b32 v48, v56, v51 offset0:3 offset1:4
	ds_write2_b32 v48, v58, v55 offset0:5 offset1:6
	ds_write2_b32 v48, v17, v59 offset1:7
	v_bfi_b32 v17, 0xffff, v19, v26
	v_bfi_b32 v19, 0xffff, v26, v19
	v_pack_b32_f16 v18, v54, v18
	v_pack_b32_f16 v21, v21, v22
	;; [unrolled: 1-line block ×7, first 2 shown]
	ds_write2_b32 v48, v19, v17 offset0:8 offset1:9
	ds_write2_b32 v48, v21, v18 offset0:10 offset1:11
	;; [unrolled: 1-line block ×4, first 2 shown]
	ds_write_b32 v48, v25 offset:64
	s_waitcnt lgkmcnt(0)
	s_barrier
	buffer_gl0_inv
	ds_read2_b32 v[17:18], v31 offset1:17
	ds_read2_b32 v[19:20], v31 offset0:34 offset1:51
	ds_read2_b32 v[22:23], v31 offset0:68 offset1:85
	;; [unrolled: 1-line block ×5, first 2 shown]
	s_waitcnt lgkmcnt(5)
	v_lshrrev_b32_e32 v21, 16, v18
	s_waitcnt lgkmcnt(4)
	v_lshrrev_b32_e32 v24, 16, v19
	v_lshrrev_b32_e32 v25, 16, v20
	v_mul_f16_sdwa v27, v8, v18 dst_sel:DWORD dst_unused:UNUSED_PAD src0_sel:WORD_1 src1_sel:DWORD
	v_mul_f16_sdwa v52, v9, v19 dst_sel:DWORD dst_unused:UNUSED_PAD src0_sel:WORD_1 src1_sel:DWORD
	s_waitcnt lgkmcnt(2)
	v_lshrrev_b32_e32 v57, 16, v48
	v_lshrrev_b32_e32 v58, 16, v49
	v_mul_f16_sdwa v60, v8, v21 dst_sel:DWORD dst_unused:UNUSED_PAD src0_sel:WORD_1 src1_sel:DWORD
	v_mul_f16_sdwa v61, v9, v24 dst_sel:DWORD dst_unused:UNUSED_PAD src0_sel:WORD_1 src1_sel:DWORD
	;; [unrolled: 1-line block ×3, first 2 shown]
	v_fma_f16 v62, v8, v21, -v27
	v_mul_f16_sdwa v21, v10, v20 dst_sel:DWORD dst_unused:UNUSED_PAD src0_sel:WORD_1 src1_sel:DWORD
	v_fma_f16 v63, v9, v24, -v52
	ds_read2_b32 v[52:53], v31 offset0:170 offset1:187
	v_lshrrev_b32_e32 v28, 16, v22
	v_lshrrev_b32_e32 v56, 16, v23
	v_fmac_f16_e32 v61, v9, v19
	v_fmac_f16_e32 v26, v10, v20
	v_mul_f16_sdwa v9, v11, v22 dst_sel:DWORD dst_unused:UNUSED_PAD src0_sel:WORD_1 src1_sel:DWORD
	v_fma_f16 v27, v10, v25, -v21
	v_fmac_f16_e32 v60, v8, v18
	v_mul_f16_sdwa v18, v5, v57 dst_sel:DWORD dst_unused:UNUSED_PAD src0_sel:WORD_1 src1_sel:DWORD
	v_mul_f16_sdwa v8, v6, v58 dst_sel:DWORD dst_unused:UNUSED_PAD src0_sel:WORD_1 src1_sel:DWORD
	;; [unrolled: 1-line block ×3, first 2 shown]
	s_waitcnt lgkmcnt(2)
	v_lshrrev_b32_e32 v59, 16, v50
	v_mul_f16_sdwa v24, v11, v28 dst_sel:DWORD dst_unused:UNUSED_PAD src0_sel:WORD_1 src1_sel:DWORD
	v_fma_f16 v25, v11, v28, -v9
	v_mul_f16_sdwa v21, v4, v56 dst_sel:DWORD dst_unused:UNUSED_PAD src0_sel:WORD_1 src1_sel:DWORD
	v_mul_f16_sdwa v9, v4, v23 dst_sel:DWORD dst_unused:UNUSED_PAD src0_sel:WORD_1 src1_sel:DWORD
	v_fmac_f16_e32 v18, v5, v48
	v_fmac_f16_e32 v8, v6, v49
	v_mul_f16_sdwa v20, v6, v49 dst_sel:DWORD dst_unused:UNUSED_PAD src0_sel:WORD_1 src1_sel:DWORD
	v_fma_f16 v19, v5, v57, -v10
	ds_read2_b32 v[48:49], v31 offset0:238 offset1:255
	ds_read_b32 v57, v31 offset:1088
	v_fmac_f16_e32 v24, v11, v22
	v_lshrrev_b32_e32 v11, 16, v51
	v_fmac_f16_e32 v21, v4, v23
	v_fma_f16 v22, v4, v56, -v9
	v_mul_f16_sdwa v23, v7, v50 dst_sel:DWORD dst_unused:UNUSED_PAD src0_sel:WORD_1 src1_sel:DWORD
	v_mul_f16_sdwa v4, v7, v59 dst_sel:DWORD dst_unused:UNUSED_PAD src0_sel:WORD_1 src1_sel:DWORD
	v_fma_f16 v9, v6, v58, -v20
	s_waitcnt lgkmcnt(2)
	v_lshrrev_b32_e32 v28, 16, v52
	v_mul_f16_sdwa v5, v12, v11 dst_sel:DWORD dst_unused:UNUSED_PAD src0_sel:WORD_1 src1_sel:DWORD
	v_fma_f16 v6, v7, v59, -v23
	v_mul_f16_sdwa v23, v12, v51 dst_sel:DWORD dst_unused:UNUSED_PAD src0_sel:WORD_1 src1_sel:DWORD
	v_fmac_f16_e32 v4, v7, v50
	v_lshrrev_b32_e32 v50, 16, v54
	v_fmac_f16_e32 v5, v12, v51
	v_mul_f16_sdwa v10, v13, v28 dst_sel:DWORD dst_unused:UNUSED_PAD src0_sel:WORD_1 src1_sel:DWORD
	v_fma_f16 v7, v12, v11, -v23
	v_mul_f16_sdwa v11, v13, v52 dst_sel:DWORD dst_unused:UNUSED_PAD src0_sel:WORD_1 src1_sel:DWORD
	v_mul_f16_sdwa v51, v15, v54 dst_sel:DWORD dst_unused:UNUSED_PAD src0_sel:WORD_1 src1_sel:DWORD
	;; [unrolled: 1-line block ×3, first 2 shown]
	v_lshrrev_b32_e32 v56, 16, v53
	v_fmac_f16_e32 v10, v13, v52
	v_fma_f16 v11, v13, v28, -v11
	v_fma_f16 v13, v15, v50, -v51
	v_fmac_f16_e32 v23, v15, v54
	s_waitcnt lgkmcnt(0)
	v_lshrrev_b32_e32 v15, 16, v57
	v_mul_f16_sdwa v20, v14, v56 dst_sel:DWORD dst_unused:UNUSED_PAD src0_sel:WORD_1 src1_sel:DWORD
	v_mul_f16_sdwa v12, v14, v53 dst_sel:DWORD dst_unused:UNUSED_PAD src0_sel:WORD_1 src1_sel:DWORD
	v_lshrrev_b32_e32 v52, 16, v55
	v_mul_f16_sdwa v50, v3, v57 dst_sel:DWORD dst_unused:UNUSED_PAD src0_sel:WORD_1 src1_sel:DWORD
	v_mul_f16_sdwa v54, v3, v15 dst_sel:DWORD dst_unused:UNUSED_PAD src0_sel:WORD_1 src1_sel:DWORD
	v_fmac_f16_e32 v20, v14, v53
	v_fma_f16 v12, v14, v56, -v12
	v_mul_f16_sdwa v14, v0, v52 dst_sel:DWORD dst_unused:UNUSED_PAD src0_sel:WORD_1 src1_sel:DWORD
	v_mul_f16_sdwa v53, v0, v55 dst_sel:DWORD dst_unused:UNUSED_PAD src0_sel:WORD_1 src1_sel:DWORD
	v_fma_f16 v50, v3, v15, -v50
	v_fmac_f16_e32 v54, v3, v57
	v_lshrrev_b32_e32 v28, 16, v48
	v_fmac_f16_e32 v14, v0, v55
	v_fma_f16 v15, v0, v52, -v53
	v_sub_f16_e32 v0, v62, v50
	v_add_f16_e32 v52, v60, v54
	v_add_f16_e32 v67, v62, v50
	v_sub_f16_e32 v70, v60, v54
	v_add_f16_e32 v60, v60, v17
	v_add_f16_sdwa v62, v62, v17 dst_sel:DWORD dst_unused:UNUSED_PAD src0_sel:DWORD src1_sel:WORD_1
	v_lshrrev_b32_e32 v51, 16, v49
	v_mul_f16_sdwa v55, v1, v28 dst_sel:DWORD dst_unused:UNUSED_PAD src0_sel:WORD_1 src1_sel:DWORD
	v_mul_f16_sdwa v3, v1, v48 dst_sel:DWORD dst_unused:UNUSED_PAD src0_sel:WORD_1 src1_sel:DWORD
	v_add_f16_e32 v60, v60, v61
	v_add_f16_e32 v62, v62, v63
	v_mul_f16_sdwa v56, v2, v51 dst_sel:DWORD dst_unused:UNUSED_PAD src0_sel:WORD_1 src1_sel:DWORD
	v_fmac_f16_e32 v55, v1, v48
	v_mul_f16_sdwa v48, v2, v49 dst_sel:DWORD dst_unused:UNUSED_PAD src0_sel:WORD_1 src1_sel:DWORD
	v_add_f16_e32 v60, v60, v26
	v_add_f16_e32 v62, v62, v27
	v_mul_f16_e32 v53, 0xb5c8, v0
	v_fmac_f16_e32 v56, v2, v49
	v_fma_f16 v1, v1, v28, -v3
	v_add_f16_e32 v60, v60, v24
	v_add_f16_e32 v62, v62, v25
	v_mul_f16_e32 v3, 0xb964, v0
	v_fma_f16 v2, v2, v51, -v48
	v_fmamk_f16 v28, v52, 0x3b76, v53
	v_add_f16_e32 v60, v60, v21
	v_add_f16_e32 v62, v62, v22
	v_fma_f16 v48, v52, 0x3b76, -v53
	v_mul_f16_e32 v49, 0xbb29, v0
	v_mul_f16_e32 v53, 0xbbf7, v0
	v_add_f16_e32 v60, v60, v18
	v_add_f16_e32 v62, v62, v19
	v_mul_f16_e32 v57, 0xbbb2, v0
	v_mul_f16_e32 v65, 0xba62, v0
	v_mul_f16_e32 v66, 0xb836, v0
	v_add_f16_e32 v60, v60, v8
	v_add_f16_e32 v62, v62, v9
	v_mul_f16_e32 v0, 0xb1e1, v0
	;; [unrolled: 5-line block ×4, first 2 shown]
	v_mul_f16_e32 v82, 0xbacd, v67
	v_mul_f16_e32 v67, 0xbbdd, v67
	v_add_f16_e32 v60, v60, v10
	v_add_f16_e32 v62, v62, v11
	v_fmamk_f16 v51, v52, 0x39e9, v3
	v_fma_f16 v3, v52, 0x39e9, -v3
	v_fmamk_f16 v58, v52, 0x3722, v49
	v_add_f16_e32 v60, v60, v20
	v_add_f16_e32 v62, v62, v12
	v_fma_f16 v49, v52, 0x3722, -v49
	v_fmamk_f16 v59, v52, 0x2de8, v53
	v_fma_f16 v53, v52, 0x2de8, -v53
	v_add_f16_e32 v60, v60, v23
	v_add_f16_e32 v62, v62, v13
	v_fmamk_f16 v64, v52, 0xb461, v57
	v_fma_f16 v57, v52, 0xb461, -v57
	v_fmamk_f16 v68, v52, 0xb8d2, v65
	v_add_f16_e32 v60, v60, v14
	v_add_f16_e32 v62, v62, v15
	v_fma_f16 v65, v52, 0xb8d2, -v65
	v_fmamk_f16 v69, v52, 0xbacd, v66
	v_fma_f16 v66, v52, 0xbacd, -v66
	v_fmamk_f16 v72, v52, 0xbbdd, v0
	;; [unrolled: 2-line block ×3, first 2 shown]
	v_fmac_f16_e32 v71, 0xb5c8, v70
	v_fmamk_f16 v75, v70, 0x3964, v73
	v_fmamk_f16 v77, v70, 0x3b29, v74
	;; [unrolled: 1-line block ×7, first 2 shown]
	v_add_f16_e32 v60, v60, v55
	v_add_f16_e32 v62, v62, v1
	v_fmac_f16_e32 v73, 0xb964, v70
	v_fmac_f16_e32 v74, 0xbb29, v70
	;; [unrolled: 1-line block ×7, first 2 shown]
	v_add_f16_sdwa v70, v71, v17 dst_sel:DWORD dst_unused:UNUSED_PAD src0_sel:DWORD src1_sel:WORD_1
	v_add_f16_sdwa v71, v75, v17 dst_sel:DWORD dst_unused:UNUSED_PAD src0_sel:DWORD src1_sel:WORD_1
	;; [unrolled: 1-line block ×7, first 2 shown]
	v_add_f16_e32 v60, v60, v56
	v_add_f16_sdwa v84, v85, v17 dst_sel:DWORD dst_unused:UNUSED_PAD src0_sel:DWORD src1_sel:WORD_1
	v_sub_f16_e32 v85, v63, v2
	v_add_f16_e32 v62, v62, v2
	v_add_f16_e32 v2, v63, v2
	;; [unrolled: 1-line block ×4, first 2 shown]
	v_mul_f16_e32 v63, 0xb964, v85
	v_add_f16_sdwa v50, v62, v50 dst_sel:WORD_1 dst_unused:UNUSED_PAD src0_sel:DWORD src1_sel:DWORD
	v_sub_f16_e32 v56, v61, v56
	v_mul_f16_e32 v61, 0x39e9, v2
	v_add_f16_sdwa v52, v52, v17 dst_sel:DWORD dst_unused:UNUSED_PAD src0_sel:DWORD src1_sel:WORD_1
	v_add_f16_e32 v48, v48, v17
	v_add_f16_e32 v62, v0, v17
	v_fmamk_f16 v86, v60, 0x39e9, v63
	v_or_b32_sdwa v0, v50, v54 dst_sel:DWORD dst_unused:UNUSED_PAD src0_sel:DWORD src1_sel:WORD_0
	v_fmamk_f16 v50, v56, 0x3964, v61
	v_mul_f16_e32 v54, 0xbbf7, v85
	v_fma_f16 v63, v60, 0x39e9, -v63
	v_add_f16_e32 v28, v28, v17
	v_add_f16_e32 v51, v51, v17
	;; [unrolled: 1-line block ×3, first 2 shown]
	v_add_f16_sdwa v73, v73, v17 dst_sel:DWORD dst_unused:UNUSED_PAD src0_sel:DWORD src1_sel:WORD_1
	v_add_f16_e32 v58, v58, v17
	v_add_f16_e32 v49, v49, v17
	v_add_f16_sdwa v74, v74, v17 dst_sel:DWORD dst_unused:UNUSED_PAD src0_sel:DWORD src1_sel:WORD_1
	v_add_f16_e32 v59, v59, v17
	v_add_f16_e32 v53, v53, v17
	;; [unrolled: 3-line block ×5, first 2 shown]
	v_add_f16_sdwa v82, v82, v17 dst_sel:DWORD dst_unused:UNUSED_PAD src0_sel:DWORD src1_sel:WORD_1
	v_add_f16_e32 v72, v72, v17
	v_add_f16_sdwa v17, v67, v17 dst_sel:DWORD dst_unused:UNUSED_PAD src0_sel:DWORD src1_sel:WORD_1
	v_fmac_f16_e32 v61, 0xb964, v56
	v_add_f16_e32 v50, v50, v52
	v_fmamk_f16 v52, v60, 0x2de8, v54
	v_mul_f16_e32 v67, 0x2de8, v2
	v_add_f16_e32 v48, v63, v48
	v_mul_f16_e32 v63, 0xba62, v85
	v_add_f16_e32 v28, v86, v28
	v_add_f16_e32 v61, v61, v70
	;; [unrolled: 1-line block ×3, first 2 shown]
	v_fmamk_f16 v52, v56, 0x3bf7, v67
	v_fma_f16 v54, v60, 0x2de8, -v54
	v_fmac_f16_e32 v67, 0xbbf7, v56
	v_fmamk_f16 v70, v60, 0xb8d2, v63
	v_mul_f16_e32 v86, 0xb8d2, v2
	v_add_f16_e32 v52, v52, v71
	v_add_f16_e32 v3, v54, v3
	;; [unrolled: 1-line block ×4, first 2 shown]
	v_fmamk_f16 v67, v56, 0x3a62, v86
	v_mul_f16_e32 v70, 0xb1e1, v85
	v_fma_f16 v63, v60, 0xb8d2, -v63
	v_fmac_f16_e32 v86, 0xba62, v56
	v_mul_f16_e32 v71, 0xbbdd, v2
	v_add_f16_e32 v67, v67, v75
	v_fmamk_f16 v73, v60, 0xbbdd, v70
	v_add_f16_e32 v49, v63, v49
	v_add_f16_e32 v63, v86, v74
	v_fmamk_f16 v74, v56, 0x31e1, v71
	v_mul_f16_e32 v75, 0x3836, v85
	v_fma_f16 v70, v60, 0xbbdd, -v70
	v_fmac_f16_e32 v71, 0xb1e1, v56
	v_add_f16_e32 v59, v73, v59
	v_add_f16_e32 v73, v74, v77
	v_fmamk_f16 v74, v60, 0xbacd, v75
	v_mul_f16_e32 v77, 0xbacd, v2
	v_add_f16_e32 v53, v70, v53
	v_add_f16_e32 v70, v71, v76
	v_mul_f16_e32 v71, 0x3bb2, v85
	v_add_f16_e32 v64, v74, v64
	v_fmamk_f16 v74, v56, 0xb836, v77
	v_fma_f16 v75, v60, 0xbacd, -v75
	v_fmac_f16_e32 v77, 0x3836, v56
	v_fmamk_f16 v76, v60, 0xb461, v71
	v_mul_f16_e32 v86, 0xb461, v2
	v_fma_f16 v71, v60, 0xb461, -v71
	v_add_f16_e32 v57, v75, v57
	v_add_f16_e32 v75, v77, v78
	v_add_f16_e32 v68, v76, v68
	v_fmamk_f16 v76, v56, 0xbbb2, v86
	v_mul_f16_e32 v77, 0x3b29, v85
	v_fmac_f16_e32 v86, 0x3bb2, v56
	v_mul_f16_e32 v78, 0x3722, v2
	v_add_f16_e32 v65, v71, v65
	v_add_f16_e32 v76, v76, v80
	v_fmamk_f16 v71, v60, 0x3722, v77
	v_add_f16_e32 v80, v86, v81
	v_fma_f16 v77, v60, 0x3722, -v77
	v_mul_f16_e32 v81, 0x35c8, v85
	v_add_f16_e32 v74, v74, v79
	v_fmamk_f16 v79, v56, 0xbb29, v78
	v_mul_f16_e32 v2, 0x3b76, v2
	v_add_f16_e32 v66, v77, v66
	v_fmamk_f16 v77, v60, 0x3b76, v81
	v_fmac_f16_e32 v78, 0x3b29, v56
	v_fma_f16 v60, v60, 0x3b76, -v81
	v_sub_f16_e32 v81, v27, v1
	v_add_f16_e32 v1, v27, v1
	v_add_f16_e32 v69, v71, v69
	;; [unrolled: 1-line block ×3, first 2 shown]
	v_fmamk_f16 v79, v56, 0xb5c8, v2
	v_fmac_f16_e32 v2, 0x35c8, v56
	v_add_f16_e32 v56, v78, v82
	v_add_f16_e32 v27, v26, v55
	v_mul_f16_e32 v78, 0xbb29, v81
	v_sub_f16_e32 v26, v26, v55
	v_mul_f16_e32 v55, 0x3722, v1
	v_add_f16_e32 v72, v77, v72
	v_add_f16_e32 v77, v79, v84
	v_fmamk_f16 v79, v27, 0x3722, v78
	v_add_f16_e32 v60, v60, v62
	v_add_f16_e32 v2, v2, v17
	v_fmamk_f16 v17, v26, 0x3b29, v55
	v_mul_f16_e32 v62, 0xba62, v81
	v_fmac_f16_e32 v55, 0xbb29, v26
	v_add_f16_e32 v28, v79, v28
	v_fma_f16 v78, v27, 0x3722, -v78
	v_add_f16_e32 v17, v17, v50
	v_fmamk_f16 v50, v27, 0xb8d2, v62
	v_mul_f16_e32 v79, 0xb8d2, v1
	v_add_f16_e32 v55, v55, v61
	v_mul_f16_e32 v61, 0x31e1, v81
	v_add_f16_e32 v48, v78, v48
	v_add_f16_e32 v50, v50, v51
	v_fmamk_f16 v51, v26, 0x3a62, v79
	v_fma_f16 v62, v27, 0xb8d2, -v62
	v_fmac_f16_e32 v79, 0xba62, v26
	v_fmamk_f16 v78, v27, 0xbbdd, v61
	v_mul_f16_e32 v82, 0xbbdd, v1
	v_add_f16_e32 v51, v51, v52
	v_add_f16_e32 v3, v62, v3
	;; [unrolled: 1-line block ×4, first 2 shown]
	v_fmamk_f16 v58, v26, 0xb1e1, v82
	v_mul_f16_e32 v62, 0x3bb2, v81
	v_fma_f16 v61, v27, 0xbbdd, -v61
	v_fmac_f16_e32 v82, 0x31e1, v26
	v_mul_f16_e32 v78, 0xb461, v1
	v_add_f16_e32 v58, v58, v67
	v_fmamk_f16 v67, v27, 0xb461, v62
	v_add_f16_e32 v49, v61, v49
	v_add_f16_e32 v61, v82, v63
	v_fmamk_f16 v63, v26, 0xbbb2, v78
	v_mul_f16_e32 v79, 0x3964, v81
	v_add_f16_e32 v59, v67, v59
	v_fma_f16 v62, v27, 0xb461, -v62
	v_fmac_f16_e32 v78, 0x3bb2, v26
	v_add_f16_e32 v63, v63, v73
	v_fmamk_f16 v67, v27, 0x39e9, v79
	v_mul_f16_e32 v73, 0x39e9, v1
	v_add_f16_e32 v53, v62, v53
	v_add_f16_e32 v62, v78, v70
	v_mul_f16_e32 v70, 0xb5c8, v81
	v_add_f16_e32 v64, v67, v64
	v_fmamk_f16 v67, v26, 0xb964, v73
	v_fma_f16 v78, v27, 0x39e9, -v79
	v_fmac_f16_e32 v73, 0x3964, v26
	v_mul_f16_e32 v82, 0x3b76, v1
	v_fmamk_f16 v79, v27, 0x3b76, v70
	v_add_f16_e32 v67, v67, v74
	v_add_f16_e32 v57, v78, v57
	;; [unrolled: 1-line block ×3, first 2 shown]
	v_fmamk_f16 v74, v26, 0x35c8, v82
	v_fma_f16 v70, v27, 0x3b76, -v70
	v_mul_f16_e32 v75, 0xbbf7, v81
	v_mul_f16_e32 v78, 0x2de8, v1
	v_fmac_f16_e32 v82, 0xb5c8, v26
	v_add_f16_e32 v74, v74, v76
	v_add_f16_e32 v65, v70, v65
	v_fmamk_f16 v70, v27, 0x2de8, v75
	v_fmamk_f16 v76, v26, 0x3bf7, v78
	v_add_f16_e32 v68, v79, v68
	v_add_f16_e32 v79, v82, v80
	v_fma_f16 v75, v27, 0x2de8, -v75
	v_mul_f16_e32 v80, 0xb836, v81
	v_add_f16_e32 v69, v70, v69
	v_add_f16_e32 v70, v76, v71
	v_mul_f16_e32 v1, 0xbacd, v1
	v_fmac_f16_e32 v78, 0xbbf7, v26
	v_sub_f16_e32 v76, v25, v15
	v_add_f16_e32 v15, v25, v15
	v_add_f16_e32 v66, v75, v66
	v_fmamk_f16 v71, v27, 0xbacd, v80
	v_fma_f16 v27, v27, 0xbacd, -v80
	v_fmamk_f16 v75, v26, 0x3836, v1
	v_fmac_f16_e32 v1, 0xb836, v26
	v_add_f16_e32 v26, v78, v56
	v_add_f16_e32 v25, v24, v14
	v_mul_f16_e32 v56, 0xbbf7, v76
	v_sub_f16_e32 v14, v24, v14
	v_mul_f16_e32 v24, 0x2de8, v15
	v_add_f16_e32 v71, v71, v72
	v_add_f16_e32 v72, v75, v77
	v_fmamk_f16 v75, v25, 0x2de8, v56
	v_add_f16_e32 v27, v27, v60
	v_add_f16_e32 v1, v1, v2
	v_fmamk_f16 v2, v14, 0x3bf7, v24
	v_mul_f16_e32 v60, 0xb1e1, v76
	v_fmac_f16_e32 v24, 0xbbf7, v14
	v_add_f16_e32 v28, v75, v28
	v_fma_f16 v56, v25, 0x2de8, -v56
	v_add_f16_e32 v2, v2, v17
	v_fmamk_f16 v17, v25, 0xbbdd, v60
	v_mul_f16_e32 v75, 0xbbdd, v15
	v_add_f16_e32 v24, v24, v55
	v_mul_f16_e32 v55, 0x3bb2, v76
	v_add_f16_e32 v48, v56, v48
	v_add_f16_e32 v17, v17, v50
	v_fmamk_f16 v50, v14, 0x31e1, v75
	v_fma_f16 v56, v25, 0xbbdd, -v60
	v_fmac_f16_e32 v75, 0xb1e1, v14
	v_fmamk_f16 v60, v25, 0xb461, v55
	v_mul_f16_e32 v77, 0xb461, v15
	v_add_f16_e32 v50, v50, v51
	v_add_f16_e32 v3, v56, v3
	;; [unrolled: 1-line block ×4, first 2 shown]
	v_fmamk_f16 v54, v14, 0xbbb2, v77
	v_mul_f16_e32 v56, 0x35c8, v76
	v_fma_f16 v55, v25, 0xb461, -v55
	v_fmac_f16_e32 v77, 0x3bb2, v14
	v_mul_f16_e32 v60, 0x3b76, v15
	v_add_f16_e32 v54, v54, v58
	v_fmamk_f16 v58, v25, 0x3b76, v56
	v_add_f16_e32 v49, v55, v49
	v_add_f16_e32 v55, v77, v61
	v_fmamk_f16 v61, v14, 0xb5c8, v60
	v_mul_f16_e32 v75, 0xbb29, v76
	v_fma_f16 v56, v25, 0x3b76, -v56
	v_fmac_f16_e32 v60, 0x35c8, v14
	v_add_f16_e32 v58, v58, v59
	v_add_f16_e32 v59, v61, v63
	v_fmamk_f16 v61, v25, 0x3722, v75
	v_mul_f16_e32 v63, 0x3722, v15
	v_add_f16_e32 v53, v56, v53
	v_add_f16_e32 v56, v60, v62
	v_mul_f16_e32 v60, 0xb836, v76
	v_add_f16_e32 v61, v61, v64
	v_fmamk_f16 v62, v14, 0x3b29, v63
	v_fma_f16 v64, v25, 0x3722, -v75
	v_fmac_f16_e32 v63, 0xbb29, v14
	v_fmamk_f16 v75, v25, 0xbacd, v60
	v_mul_f16_e32 v77, 0xbacd, v15
	v_add_f16_e32 v62, v62, v67
	v_add_f16_e32 v57, v64, v57
	;; [unrolled: 1-line block ×4, first 2 shown]
	v_fmamk_f16 v67, v14, 0x3836, v77
	v_fma_f16 v60, v25, 0xbacd, -v60
	v_mul_f16_e32 v68, 0x3a62, v76
	v_mul_f16_e32 v73, 0xb8d2, v15
	v_mul_f16_e32 v76, 0x3964, v76
	v_add_f16_e32 v67, v67, v74
	v_add_f16_e32 v60, v60, v65
	v_fmamk_f16 v65, v25, 0xb8d2, v68
	v_fmamk_f16 v74, v14, 0xba62, v73
	v_fma_f16 v68, v25, 0xb8d2, -v68
	v_mul_f16_e32 v15, 0x39e9, v15
	v_fmac_f16_e32 v73, 0x3a62, v14
	v_add_f16_e32 v65, v65, v69
	v_add_f16_e32 v69, v74, v70
	v_sub_f16_e32 v74, v22, v13
	v_add_f16_e32 v13, v22, v13
	v_fmac_f16_e32 v77, 0xb836, v14
	v_add_f16_e32 v66, v68, v66
	v_fmamk_f16 v68, v25, 0x39e9, v76
	v_fma_f16 v25, v25, 0x39e9, -v76
	v_fmamk_f16 v70, v14, 0xb964, v15
	v_fmac_f16_e32 v15, 0x3964, v14
	v_add_f16_e32 v14, v73, v26
	v_add_f16_e32 v22, v21, v23
	v_mul_f16_e32 v26, 0xbbb2, v74
	v_sub_f16_e32 v21, v21, v23
	v_mul_f16_e32 v23, 0xb461, v13
	v_add_f16_e32 v68, v68, v71
	v_add_f16_e32 v25, v25, v27
	v_fmamk_f16 v71, v22, 0xb461, v26
	v_add_f16_e32 v1, v15, v1
	v_fmamk_f16 v15, v21, 0x3bb2, v23
	v_mul_f16_e32 v27, 0x3836, v74
	v_fmac_f16_e32 v23, 0xbbb2, v21
	v_add_f16_e32 v28, v71, v28
	v_fma_f16 v26, v22, 0xb461, -v26
	v_add_f16_e32 v2, v15, v2
	v_fmamk_f16 v15, v22, 0xbacd, v27
	v_mul_f16_e32 v71, 0xbacd, v13
	v_add_f16_e32 v23, v23, v24
	v_mul_f16_e32 v24, 0x3964, v74
	v_add_f16_e32 v70, v70, v72
	v_add_f16_e32 v26, v26, v48
	;; [unrolled: 1-line block ×3, first 2 shown]
	v_fmamk_f16 v17, v21, 0xb836, v71
	v_fma_f16 v27, v22, 0xbacd, -v27
	v_fmac_f16_e32 v71, 0x3836, v21
	v_fmamk_f16 v48, v22, 0x39e9, v24
	v_mul_f16_e32 v72, 0x39e9, v13
	v_add_f16_e32 v17, v17, v50
	v_add_f16_e32 v3, v27, v3
	;; [unrolled: 1-line block ×4, first 2 shown]
	v_fmamk_f16 v50, v21, 0xb964, v72
	v_mul_f16_e32 v51, 0xbb29, v74
	v_fma_f16 v24, v22, 0x39e9, -v24
	v_fmac_f16_e32 v72, 0x3964, v21
	v_mul_f16_e32 v52, 0x3722, v13
	v_add_f16_e32 v50, v50, v54
	v_fmamk_f16 v54, v22, 0x3722, v51
	v_add_f16_e32 v24, v24, v49
	v_add_f16_e32 v49, v72, v55
	v_fmamk_f16 v55, v21, 0x3b29, v52
	v_mul_f16_e32 v71, 0xb1e1, v74
	v_fma_f16 v51, v22, 0x3722, -v51
	v_add_f16_e32 v54, v54, v58
	v_fmac_f16_e32 v52, 0xbb29, v21
	v_add_f16_e32 v55, v55, v59
	v_fmamk_f16 v58, v22, 0xbbdd, v71
	v_mul_f16_e32 v59, 0xbbdd, v13
	v_add_f16_e32 v51, v51, v53
	v_mul_f16_e32 v53, 0x3bf7, v74
	v_add_f16_e32 v52, v52, v56
	v_add_f16_e32 v56, v58, v61
	v_fmamk_f16 v58, v21, 0x31e1, v59
	v_fma_f16 v61, v22, 0xbbdd, -v71
	v_fmac_f16_e32 v59, 0xb1e1, v21
	v_fmamk_f16 v71, v22, 0x2de8, v53
	v_mul_f16_e32 v72, 0x2de8, v13
	v_add_f16_e32 v58, v58, v62
	v_add_f16_e32 v57, v61, v57
	;; [unrolled: 1-line block ×4, first 2 shown]
	v_fmamk_f16 v62, v21, 0xbbf7, v72
	v_fma_f16 v53, v22, 0x2de8, -v53
	v_mul_f16_e32 v63, 0xb5c8, v74
	v_mul_f16_e32 v64, 0x3b76, v13
	v_add_f16_e32 v75, v77, v79
	v_fmac_f16_e32 v72, 0x3bf7, v21
	v_add_f16_e32 v62, v62, v67
	v_add_f16_e32 v53, v53, v60
	v_fmamk_f16 v60, v22, 0x3b76, v63
	v_fmamk_f16 v67, v21, 0x35c8, v64
	v_add_f16_e32 v71, v72, v75
	v_fma_f16 v63, v22, 0x3b76, -v63
	v_mul_f16_e32 v72, 0xba62, v74
	v_add_f16_e32 v60, v60, v65
	v_add_f16_e32 v65, v67, v69
	v_mul_f16_e32 v13, 0xb8d2, v13
	v_sub_f16_e32 v69, v19, v12
	v_add_f16_e32 v12, v19, v12
	v_add_f16_e32 v63, v63, v66
	v_fmamk_f16 v66, v22, 0xb8d2, v72
	v_fmac_f16_e32 v64, 0xb5c8, v21
	v_fma_f16 v22, v22, 0xb8d2, -v72
	v_fmamk_f16 v67, v21, 0x3a62, v13
	v_fmac_f16_e32 v13, 0xba62, v21
	v_add_f16_e32 v19, v18, v20
	v_mul_f16_e32 v21, 0xba62, v69
	v_sub_f16_e32 v18, v18, v20
	v_mul_f16_e32 v20, 0xb8d2, v12
	v_add_f16_e32 v14, v64, v14
	v_add_f16_e32 v64, v66, v68
	;; [unrolled: 1-line block ×3, first 2 shown]
	v_fmamk_f16 v67, v19, 0xb8d2, v21
	v_add_f16_e32 v22, v22, v25
	v_add_f16_e32 v1, v13, v1
	v_fmamk_f16 v13, v18, 0x3a62, v20
	v_mul_f16_e32 v25, 0x3bb2, v69
	v_fmac_f16_e32 v20, 0xba62, v18
	v_add_f16_e32 v28, v67, v28
	v_fma_f16 v21, v19, 0xb8d2, -v21
	v_add_f16_e32 v2, v13, v2
	v_fmamk_f16 v13, v19, 0xb461, v25
	v_mul_f16_e32 v67, 0xb461, v12
	v_add_f16_e32 v20, v20, v23
	v_mul_f16_e32 v23, 0xb5c8, v69
	v_add_f16_e32 v21, v21, v26
	v_add_f16_e32 v13, v13, v15
	v_fmamk_f16 v15, v18, 0xbbb2, v67
	v_fma_f16 v25, v19, 0xb461, -v25
	v_fmac_f16_e32 v67, 0x3bb2, v18
	v_fmamk_f16 v26, v19, 0x3b76, v23
	v_mul_f16_e32 v68, 0x3b76, v12
	v_add_f16_e32 v15, v15, v17
	v_add_f16_e32 v3, v25, v3
	;; [unrolled: 1-line block ×4, first 2 shown]
	v_fmamk_f16 v26, v18, 0x35c8, v68
	v_mul_f16_e32 v27, 0xb836, v69
	v_fma_f16 v23, v19, 0x3b76, -v23
	v_fmac_f16_e32 v68, 0xb5c8, v18
	v_mul_f16_e32 v48, 0xbacd, v12
	v_add_f16_e32 v26, v26, v50
	v_fmamk_f16 v50, v19, 0xbacd, v27
	v_add_f16_e32 v23, v23, v24
	v_add_f16_e32 v24, v68, v49
	v_fmamk_f16 v49, v18, 0x3836, v48
	v_mul_f16_e32 v67, 0x3bf7, v69
	v_fma_f16 v27, v19, 0xbacd, -v27
	v_add_f16_e32 v50, v50, v54
	v_fmac_f16_e32 v48, 0xb836, v18
	v_add_f16_e32 v49, v49, v55
	v_fmamk_f16 v54, v19, 0x2de8, v67
	v_mul_f16_e32 v55, 0x2de8, v12
	v_add_f16_e32 v27, v27, v51
	v_mul_f16_e32 v51, 0xb964, v69
	v_add_f16_e32 v48, v48, v52
	v_add_f16_e32 v52, v54, v56
	v_fmamk_f16 v54, v18, 0xbbf7, v55
	v_fma_f16 v56, v19, 0x2de8, -v67
	v_fmac_f16_e32 v55, 0x3bf7, v18
	v_fmamk_f16 v67, v19, 0x39e9, v51
	v_mul_f16_e32 v68, 0x39e9, v12
	v_add_f16_e32 v54, v54, v58
	v_add_f16_e32 v56, v56, v57
	;; [unrolled: 1-line block ×4, first 2 shown]
	v_fmamk_f16 v58, v18, 0x3964, v68
	v_fma_f16 v51, v19, 0x39e9, -v51
	v_mul_f16_e32 v59, 0xb1e1, v69
	v_mul_f16_e32 v61, 0xbbdd, v12
	v_fmac_f16_e32 v68, 0xb964, v18
	v_add_f16_e32 v58, v58, v62
	v_add_f16_e32 v51, v51, v53
	v_fmamk_f16 v53, v19, 0xbbdd, v59
	v_fmamk_f16 v62, v18, 0x31e1, v61
	v_add_f16_e32 v67, v68, v71
	v_fma_f16 v59, v19, 0xbbdd, -v59
	v_mul_f16_e32 v68, 0x3b29, v69
	v_add_f16_e32 v53, v53, v60
	v_add_f16_e32 v60, v62, v65
	v_mul_f16_e32 v12, 0x3722, v12
	v_sub_f16_e32 v65, v9, v11
	v_add_f16_e32 v9, v9, v11
	v_add_f16_e32 v59, v59, v63
	v_fmamk_f16 v62, v19, 0x3722, v68
	v_fmac_f16_e32 v61, 0xb1e1, v18
	v_fma_f16 v19, v19, 0x3722, -v68
	v_fmamk_f16 v63, v18, 0xbb29, v12
	v_fmac_f16_e32 v12, 0x3b29, v18
	v_add_f16_e32 v11, v8, v10
	v_mul_f16_e32 v18, 0xb836, v65
	v_sub_f16_e32 v8, v8, v10
	v_mul_f16_e32 v10, 0xbacd, v9
	v_add_f16_e32 v14, v61, v14
	v_add_f16_e32 v61, v62, v64
	;; [unrolled: 1-line block ×3, first 2 shown]
	v_fmamk_f16 v63, v11, 0xbacd, v18
	v_add_f16_e32 v19, v19, v22
	v_add_f16_e32 v1, v12, v1
	v_mul_f16_e32 v12, 0x3b29, v65
	v_fmamk_f16 v22, v8, 0x3836, v10
	v_fmac_f16_e32 v10, 0xb836, v8
	v_add_f16_e32 v28, v63, v28
	v_fma_f16 v18, v11, 0xbacd, -v18
	v_fmamk_f16 v63, v11, 0x3722, v12
	v_add_f16_e32 v2, v22, v2
	v_mul_f16_e32 v22, 0x3722, v9
	v_add_f16_e32 v10, v10, v20
	v_mul_f16_e32 v20, 0xbbf7, v65
	v_add_f16_e32 v18, v18, v21
	v_add_f16_e32 v13, v63, v13
	v_fmamk_f16 v21, v8, 0xbb29, v22
	v_fma_f16 v12, v11, 0x3722, -v12
	v_fmac_f16_e32 v22, 0x3b29, v8
	v_mul_f16_e32 v63, 0x2de8, v9
	v_fmamk_f16 v64, v11, 0x2de8, v20
	v_add_f16_e32 v15, v21, v15
	v_add_f16_e32 v3, v12, v3
	;; [unrolled: 1-line block ×3, first 2 shown]
	v_fmamk_f16 v17, v8, 0x3bf7, v63
	v_add_f16_e32 v21, v64, v25
	v_mul_f16_e32 v22, 0x3a62, v65
	v_fma_f16 v20, v11, 0x2de8, -v20
	v_fmac_f16_e32 v63, 0xbbf7, v8
	v_mul_f16_e32 v25, 0xb8d2, v9
	v_add_f16_e32 v17, v17, v26
	v_fmamk_f16 v26, v11, 0xb8d2, v22
	v_add_f16_e32 v20, v20, v23
	v_add_f16_e32 v23, v63, v24
	v_mul_f16_e32 v24, 0xb5c8, v65
	v_fmamk_f16 v63, v8, 0xba62, v25
	v_fmac_f16_e32 v25, 0x3a62, v8
	v_add_f16_e32 v26, v26, v50
	v_fma_f16 v22, v11, 0xb8d2, -v22
	v_fmamk_f16 v50, v11, 0x3b76, v24
	v_add_f16_e32 v49, v63, v49
	v_mul_f16_e32 v63, 0x3b76, v9
	v_add_f16_e32 v25, v25, v48
	v_mul_f16_e32 v48, 0xb1e1, v65
	v_add_f16_e32 v22, v22, v27
	v_add_f16_e32 v27, v50, v52
	v_fmamk_f16 v50, v8, 0x35c8, v63
	v_fma_f16 v24, v11, 0x3b76, -v24
	v_mul_f16_e32 v52, 0xbbdd, v9
	v_fmamk_f16 v64, v11, 0xbbdd, v48
	v_fmac_f16_e32 v63, 0xb5c8, v8
	v_add_f16_e32 v50, v50, v54
	v_add_f16_e32 v24, v24, v56
	v_fmamk_f16 v54, v8, 0x31e1, v52
	v_add_f16_e32 v56, v64, v57
	v_fma_f16 v48, v11, 0xbbdd, -v48
	v_fmac_f16_e32 v52, 0xb1e1, v8
	v_mul_f16_e32 v57, 0x3964, v65
	v_add_f16_e32 v55, v63, v55
	v_add_f16_e32 v54, v54, v58
	v_mul_f16_e32 v58, 0x39e9, v9
	v_add_f16_e32 v48, v48, v51
	v_add_f16_e32 v51, v52, v67
	v_mul_f16_e32 v52, 0xbbb2, v65
	v_fmamk_f16 v63, v11, 0x39e9, v57
	v_fma_f16 v57, v11, 0x39e9, -v57
	v_fmamk_f16 v64, v8, 0xb964, v58
	v_fmac_f16_e32 v58, 0x3964, v8
	v_fmamk_f16 v65, v11, 0xb461, v52
	v_mul_f16_e32 v9, 0xb461, v9
	v_add_f16_e32 v57, v57, v59
	v_sub_f16_e32 v59, v6, v7
	v_add_f16_e32 v6, v6, v7
	v_add_f16_e32 v14, v58, v14
	v_add_f16_e32 v58, v65, v61
	v_fma_f16 v11, v11, 0xb461, -v52
	v_add_f16_e32 v52, v4, v5
	v_fmamk_f16 v61, v8, 0x3bb2, v9
	v_fmac_f16_e32 v9, 0xbbb2, v8
	v_sub_f16_e32 v4, v4, v5
	v_mul_f16_e32 v5, 0xbbdd, v6
	v_mul_f16_e32 v7, 0xb1e1, v59
	v_add_f16_e32 v11, v11, v19
	v_add_f16_e32 v1, v9, v1
	v_mul_f16_e32 v19, 0x35c8, v59
	v_fmamk_f16 v9, v4, 0x31e1, v5
	v_fmamk_f16 v8, v52, 0xbbdd, v7
	v_fma_f16 v7, v52, 0xbbdd, -v7
	v_fmac_f16_e32 v5, 0xb1e1, v4
	v_add_f16_e32 v61, v61, v62
	v_add_f16_e32 v2, v9, v2
	v_mul_f16_e32 v9, 0x3b76, v6
	v_add_f16_e32 v8, v8, v28
	v_fmamk_f16 v28, v52, 0x3b76, v19
	v_add_f16_e32 v7, v7, v18
	v_add_f16_e32 v5, v5, v10
	v_mul_f16_e32 v10, 0xb836, v59
	v_fmamk_f16 v18, v4, 0xb5c8, v9
	v_add_f16_e32 v13, v28, v13
	v_fma_f16 v19, v52, 0x3b76, -v19
	v_fmac_f16_e32 v9, 0x35c8, v4
	v_fmamk_f16 v28, v52, 0xbacd, v10
	v_add_f16_e32 v15, v18, v15
	v_mul_f16_e32 v18, 0xbacd, v6
	v_add_f16_e32 v3, v19, v3
	v_add_f16_e32 v9, v9, v12
	;; [unrolled: 1-line block ×3, first 2 shown]
	v_mul_f16_e32 v19, 0x3964, v59
	v_fmamk_f16 v21, v4, 0x3836, v18
	v_fma_f16 v10, v52, 0xbacd, -v10
	v_fmac_f16_e32 v18, 0xb836, v4
	v_mul_f16_e32 v28, 0x39e9, v6
	v_fmamk_f16 v62, v52, 0x39e9, v19
	v_fma_f16 v19, v52, 0x39e9, -v19
	v_add_f16_e32 v10, v10, v20
	v_add_f16_e32 v18, v18, v23
	v_fmamk_f16 v20, v4, 0xb964, v28
	v_mul_f16_e32 v23, 0xba62, v59
	v_fmac_f16_e32 v28, 0x3964, v4
	v_add_f16_e32 v17, v21, v17
	v_add_f16_e32 v21, v62, v26
	;; [unrolled: 1-line block ×3, first 2 shown]
	v_mul_f16_e32 v26, 0xb8d2, v6
	v_fmamk_f16 v49, v52, 0xb8d2, v23
	v_add_f16_e32 v19, v19, v22
	v_add_f16_e32 v22, v28, v25
	v_mul_f16_e32 v25, 0x3b29, v59
	v_fmamk_f16 v28, v4, 0x3a62, v26
	v_add_f16_e32 v27, v49, v27
	v_fma_f16 v23, v52, 0xb8d2, -v23
	v_fmac_f16_e32 v26, 0xba62, v4
	v_fmamk_f16 v49, v52, 0x3722, v25
	v_add_f16_e32 v28, v28, v50
	v_mul_f16_e32 v50, 0x3722, v6
	v_add_f16_e32 v23, v23, v24
	v_add_f16_e32 v24, v26, v55
	;; [unrolled: 1-line block ×3, first 2 shown]
	v_mul_f16_e32 v49, 0xbbb2, v59
	v_add_f16_e32 v53, v63, v53
	v_fmamk_f16 v55, v4, 0xbb29, v50
	v_fmac_f16_e32 v50, 0x3b29, v4
	v_fma_f16 v25, v52, 0x3722, -v25
	v_fmamk_f16 v62, v52, 0xb461, v49
	v_mul_f16_e32 v56, 0xb461, v6
	v_mul_f16_e32 v6, 0x2de8, v6
	v_add_f16_e32 v50, v50, v51
	v_add_f16_e32 v60, v64, v60
	;; [unrolled: 1-line block ×3, first 2 shown]
	v_mul_f16_e32 v53, 0x3bf7, v59
	v_add_f16_e32 v25, v25, v48
	v_fmamk_f16 v48, v4, 0x3bb2, v56
	v_add_f16_e32 v54, v55, v54
	v_fma_f16 v49, v52, 0xb461, -v49
	v_fmamk_f16 v55, v52, 0x2de8, v53
	v_fmamk_f16 v59, v4, 0xbbf7, v6
	v_fma_f16 v52, v52, 0x2de8, -v53
	v_fmac_f16_e32 v6, 0x3bf7, v4
	v_fmac_f16_e32 v56, 0xbbb2, v4
	v_add_f16_e32 v48, v48, v60
	v_add_f16_e32 v53, v55, v58
	;; [unrolled: 1-line block ×4, first 2 shown]
	v_pack_b32_f16 v2, v8, v2
	v_add_f16_e32 v1, v6, v1
	v_add_f16_e32 v49, v49, v57
	;; [unrolled: 1-line block ×3, first 2 shown]
	v_pack_b32_f16 v4, v13, v15
	v_pack_b32_f16 v8, v12, v17
	;; [unrolled: 1-line block ×6, first 2 shown]
	ds_write2_b32 v31, v0, v2 offset1:17
	ds_write2_b32 v31, v4, v8 offset0:34 offset1:51
	ds_write2_b32 v31, v12, v13 offset0:68 offset1:85
	;; [unrolled: 1-line block ×3, first 2 shown]
	v_pack_b32_f16 v0, v53, v55
	v_pack_b32_f16 v1, v11, v1
	;; [unrolled: 1-line block ×9, first 2 shown]
	ds_write2_b32 v31, v0, v1 offset0:136 offset1:153
	ds_write2_b32 v31, v2, v4 offset0:170 offset1:187
	;; [unrolled: 1-line block ×4, first 2 shown]
	ds_write_b32 v31, v5 offset:1088
	s_waitcnt lgkmcnt(0)
	s_barrier
	buffer_gl0_inv
	ds_read2_b32 v[0:1], v31 offset1:17
	s_waitcnt lgkmcnt(0)
	v_lshrrev_b32_e32 v4, 16, v0
	v_lshrrev_b32_e32 v9, 16, v1
	v_mul_f16_sdwa v2, v47, v4 dst_sel:DWORD dst_unused:UNUSED_PAD src0_sel:WORD_1 src1_sel:DWORD
	v_mul_f16_sdwa v7, v46, v9 dst_sel:DWORD dst_unused:UNUSED_PAD src0_sel:WORD_1 src1_sel:DWORD
	v_fmac_f16_e32 v2, v47, v0
	v_mul_f16_sdwa v0, v47, v0 dst_sel:DWORD dst_unused:UNUSED_PAD src0_sel:WORD_1 src1_sel:DWORD
	v_fmac_f16_e32 v7, v46, v1
	v_mul_f16_sdwa v1, v46, v1 dst_sel:DWORD dst_unused:UNUSED_PAD src0_sel:WORD_1 src1_sel:DWORD
	v_cvt_f32_f16_e32 v2, v2
	v_fma_f16 v0, v47, v4, -v0
	v_cvt_f32_f16_e32 v7, v7
	v_fma_f16 v1, v46, v9, -v1
	v_cvt_f64_f32_e32 v[2:3], v2
	v_cvt_f32_f16_e32 v0, v0
	v_cvt_f64_f32_e32 v[4:5], v0
	v_mul_f64 v[2:3], v[2:3], s[2:3]
	v_mul_f64 v[4:5], v[4:5], s[2:3]
	v_and_or_b32 v0, 0x1ff, v3, v2
	v_lshrrev_b32_e32 v2, 8, v3
	v_bfe_u32 v8, v3, 20, 11
	v_cmp_ne_u32_e32 vcc_lo, 0, v0
	v_and_or_b32 v4, 0x1ff, v5, v4
	v_lshrrev_b32_e32 v11, 8, v5
	v_bfe_u32 v12, v5, 20, 11
	v_add_nc_u32_e32 v14, 0xfffffc10, v8
	v_cndmask_b32_e64 v0, 0, 1, vcc_lo
	v_cmp_ne_u32_e32 vcc_lo, 0, v4
	v_and_or_b32 v2, 0xffe, v2, v0
	v_sub_nc_u32_e32 v0, 0x3f1, v8
	v_cndmask_b32_e64 v4, 0, 1, vcc_lo
	v_or_b32_e32 v6, 0x1000, v2
	v_med3_i32 v0, v0, 0, 13
	v_and_or_b32 v4, 0xffe, v11, v4
	v_sub_nc_u32_e32 v11, 0x3f1, v12
	v_add_nc_u32_e32 v12, 0xfffffc10, v12
	v_lshrrev_b32_e32 v10, v0, v6
	v_or_b32_e32 v13, 0x1000, v4
	v_med3_i32 v8, v11, 0, 13
	v_cmp_gt_i32_e64 s1, 1, v12
	v_lshlrev_b32_e32 v0, v0, v10
	v_lshrrev_b32_e32 v11, v8, v13
	v_cmp_ne_u32_e32 vcc_lo, v0, v6
	v_cvt_f64_f32_e32 v[6:7], v7
	v_cndmask_b32_e64 v0, 0, 1, vcc_lo
	v_cmp_gt_i32_e32 vcc_lo, 1, v14
	v_or_b32_e32 v0, v10, v0
	v_lshl_or_b32 v10, v14, 12, v2
	v_cndmask_b32_e32 v10, v10, v0, vcc_lo
	v_lshlrev_b32_e32 v0, v8, v11
	v_and_b32_e32 v8, 7, v10
	v_cmp_ne_u32_e32 vcc_lo, v0, v13
	v_cvt_f32_f16_e32 v13, v1
	v_mul_f64 v[0:1], v[6:7], s[2:3]
	v_lshrrev_b32_e32 v10, 2, v10
	v_cmp_eq_u32_e64 s0, 3, v8
	v_cndmask_b32_e64 v9, 0, 1, vcc_lo
	v_cvt_f64_f32_e32 v[6:7], v13
	v_cmp_lt_i32_e32 vcc_lo, 5, v8
	v_lshl_or_b32 v13, v12, 12, v4
	v_or_b32_e32 v11, v11, v9
	v_mad_u64_u32 v[8:9], null, s10, v16, 0
	s_or_b32 vcc_lo, s0, vcc_lo
	v_add_co_ci_u32_e32 v10, vcc_lo, 0, v10, vcc_lo
	v_cmp_ne_u32_e32 vcc_lo, 0, v2
	v_cndmask_b32_e64 v11, v13, v11, s1
	v_mov_b32_e32 v2, v9
	v_cmp_eq_u32_e64 s1, 0x40f, v14
	v_cndmask_b32_e64 v13, 0, 1, vcc_lo
	v_cmp_gt_i32_e32 vcc_lo, 31, v14
	v_and_b32_e32 v15, 7, v11
	v_and_or_b32 v0, 0x1ff, v1, v0
	v_lshrrev_b32_e32 v14, 16, v3
	v_lshl_or_b32 v13, v13, 9, 0x7c00
	v_mul_f64 v[6:7], v[6:7], s[2:3]
	v_cndmask_b32_e32 v17, 0x7c00, v10, vcc_lo
	v_cmp_lt_i32_e32 vcc_lo, 5, v15
	v_cmp_eq_u32_e64 s0, 3, v15
	v_mad_u64_u32 v[9:10], null, s11, v16, v[2:3]
	v_lshrrev_b32_e32 v10, 2, v11
	v_cndmask_b32_e64 v13, v17, v13, s1
	v_cmp_ne_u32_e64 s1, 0, v0
	ds_read2_b32 v[2:3], v31 offset0:34 offset1:51
	s_or_b32 vcc_lo, s0, vcc_lo
	v_lshrrev_b32_e32 v11, 8, v1
	v_add_co_ci_u32_e32 v16, vcc_lo, 0, v10, vcc_lo
	v_cndmask_b32_e64 v0, 0, 1, s1
	v_bfe_u32 v15, v1, 20, 11
	v_cmp_ne_u32_e32 vcc_lo, 0, v4
	v_and_or_b32 v13, 0x8000, v14, v13
	v_lshlrev_b64 v[8:9], 2, v[8:9]
	v_and_or_b32 v17, 0xffe, v11, v0
	v_sub_nc_u32_e32 v0, 0x3f1, v15
	v_cndmask_b32_e64 v4, 0, 1, vcc_lo
	v_cmp_gt_i32_e32 vcc_lo, 31, v12
	v_and_or_b32 v6, 0x1ff, v7, v6
	v_or_b32_e32 v18, 0x1000, v17
	v_med3_i32 v19, v0, 0, 13
	v_lshl_or_b32 v4, v4, 9, 0x7c00
	v_cndmask_b32_e32 v0, 0x7c00, v16, vcc_lo
	v_cmp_eq_u32_e32 vcc_lo, 0x40f, v12
	v_mad_u64_u32 v[10:11], null, s8, v44, 0
	v_lshrrev_b32_e32 v14, v19, v18
	s_waitcnt lgkmcnt(0)
	v_lshrrev_b32_e32 v16, 16, v2
	v_cndmask_b32_e32 v20, v0, v4, vcc_lo
	v_cmp_ne_u32_e32 vcc_lo, 0, v6
	v_bfe_u32 v21, v7, 20, 11
	v_lshlrev_b32_e32 v12, v19, v14
	v_mov_b32_e32 v0, v11
	v_mul_f16_sdwa v6, v45, v16 dst_sel:DWORD dst_unused:UNUSED_PAD src0_sel:WORD_1 src1_sel:DWORD
	v_cndmask_b32_e64 v4, 0, 1, vcc_lo
	v_lshrrev_b32_e32 v11, 8, v7
	v_cmp_ne_u32_e32 vcc_lo, v12, v18
	v_lshrrev_b32_e32 v19, 16, v5
	v_fmac_f16_e32 v6, v45, v2
	v_add_nc_u32_e32 v15, 0xfffffc10, v15
	v_and_or_b32 v22, 0xffe, v11, v4
	v_sub_nc_u32_e32 v4, 0x3f1, v21
	v_cndmask_b32_e64 v5, 0, 1, vcc_lo
	v_cvt_f32_f16_e32 v6, v6
	v_lshl_or_b32 v24, v15, 12, v17
	v_or_b32_e32 v18, 0x1000, v22
	v_med3_i32 v23, v4, 0, 13
	v_or_b32_e32 v14, v14, v5
	v_cvt_f64_f32_e32 v[4:5], v6
	v_cmp_gt_i32_e32 vcc_lo, 1, v15
	v_mad_u64_u32 v[11:12], null, s9, v44, v[0:1]
	v_lshrrev_b32_e32 v6, v23, v18
	v_and_or_b32 v12, 0x8000, v19, v20
	v_cndmask_b32_e32 v0, v24, v14, vcc_lo
	v_and_b32_e32 v13, 0xffff, v13
	v_mul_f16_sdwa v2, v45, v2 dst_sel:DWORD dst_unused:UNUSED_PAD src0_sel:WORD_1 src1_sel:DWORD
	v_lshlrev_b32_e32 v19, v23, v6
	v_and_b32_e32 v14, 7, v0
	v_lshl_or_b32 v20, v12, 16, v13
	v_lshrrev_b32_e32 v0, 2, v0
	v_cmp_ne_u32_e64 s0, v19, v18
	v_add_nc_u32_e32 v18, 0xfffffc10, v21
	v_cmp_lt_i32_e32 vcc_lo, 5, v14
	v_fma_f16 v2, v45, v16, -v2
	v_cndmask_b32_e64 v12, 0, 1, s0
	v_cmp_eq_u32_e64 s0, 3, v14
	v_lshl_or_b32 v14, v18, 12, v22
	v_cvt_f32_f16_e32 v2, v2
	v_mul_f64 v[4:5], v[4:5], s[2:3]
	v_or_b32_e32 v6, v6, v12
	s_or_b32 vcc_lo, s0, vcc_lo
	v_add_co_ci_u32_e32 v0, vcc_lo, 0, v0, vcc_lo
	v_cmp_ne_u32_e32 vcc_lo, 0, v17
	v_cvt_f64_f32_e32 v[12:13], v2
	v_cndmask_b32_e64 v16, 0, 1, vcc_lo
	v_cmp_gt_i32_e32 vcc_lo, 1, v18
	v_cndmask_b32_e32 v2, v14, v6, vcc_lo
	v_cmp_gt_i32_e32 vcc_lo, 31, v15
	v_lshl_or_b32 v6, v16, 9, 0x7c00
	v_and_b32_e32 v14, 7, v2
	v_cndmask_b32_e32 v0, 0x7c00, v0, vcc_lo
	v_add_co_u32 v16, vcc_lo, s4, v8
	v_add_co_ci_u32_e32 v17, vcc_lo, s5, v9, vcc_lo
	v_cmp_eq_u32_e32 vcc_lo, 0x40f, v15
	v_cmp_eq_u32_e64 s0, 3, v14
	v_lshrrev_b32_e32 v2, 2, v2
	v_and_or_b32 v4, 0x1ff, v5, v4
	v_mul_f64 v[8:9], v[12:13], s[2:3]
	v_cndmask_b32_e32 v6, v0, v6, vcc_lo
	v_cmp_lt_i32_e32 vcc_lo, 5, v14
	v_lshrrev_b32_e32 v14, 16, v1
	v_lshlrev_b64 v[0:1], 2, v[10:11]
	v_lshrrev_b32_e32 v13, 16, v3
	v_lshrrev_b32_e32 v11, 8, v5
	s_or_b32 vcc_lo, s0, vcc_lo
	v_bfe_u32 v12, v5, 20, 11
	v_add_co_ci_u32_e32 v2, vcc_lo, 0, v2, vcc_lo
	v_cmp_ne_u32_e32 vcc_lo, 0, v22
	v_mul_f16_sdwa v15, v43, v13 dst_sel:DWORD dst_unused:UNUSED_PAD src0_sel:WORD_1 src1_sel:DWORD
	v_and_or_b32 v14, 0x8000, v14, v6
	s_mul_i32 s0, s9, 0x44
	s_mul_hi_u32 s4, s8, 0x44
	v_cndmask_b32_e64 v10, 0, 1, vcc_lo
	v_cmp_ne_u32_e32 vcc_lo, 0, v4
	v_fmac_f16_e32 v15, v43, v3
	v_mul_f16_sdwa v3, v43, v3 dst_sel:DWORD dst_unused:UNUSED_PAD src0_sel:WORD_1 src1_sel:DWORD
	v_and_b32_e32 v14, 0xffff, v14
	v_lshl_or_b32 v10, v10, 9, 0x7c00
	v_cndmask_b32_e64 v4, 0, 1, vcc_lo
	v_cmp_gt_i32_e32 vcc_lo, 31, v18
	v_and_or_b32 v8, 0x1ff, v9, v8
	v_cvt_f32_f16_e32 v6, v15
	v_lshrrev_b32_e32 v15, 8, v9
	v_and_or_b32 v4, 0xffe, v11, v4
	v_sub_nc_u32_e32 v11, 0x3f1, v12
	v_cndmask_b32_e32 v2, 0x7c00, v2, vcc_lo
	v_cmp_eq_u32_e32 vcc_lo, 0x40f, v18
	v_add_nc_u32_e32 v12, 0xfffffc10, v12
	v_or_b32_e32 v19, 0x1000, v4
	v_med3_i32 v11, v11, 0, 13
	v_fma_f16 v3, v43, v13, -v3
	v_cndmask_b32_e32 v2, v2, v10, vcc_lo
	v_add_co_u32 v0, vcc_lo, v16, v0
	v_lshrrev_b32_e32 v18, v11, v19
	v_add_co_ci_u32_e32 v1, vcc_lo, v17, v1, vcc_lo
	v_cmp_ne_u32_e32 vcc_lo, 0, v8
	v_lshrrev_b32_e32 v10, 16, v7
	v_cvt_f64_f32_e32 v[6:7], v6
	v_lshlrev_b32_e32 v11, v11, v18
	v_bfe_u32 v16, v9, 20, 11
	v_cndmask_b32_e64 v8, 0, 1, vcc_lo
	v_and_or_b32 v10, 0x8000, v10, v2
	v_lshl_or_b32 v17, v12, 12, v4
	v_cmp_ne_u32_e32 vcc_lo, v11, v19
	v_sub_nc_u32_e32 v2, 0x3f1, v16
	v_and_or_b32 v8, 0xffe, v15, v8
	s_add_i32 s4, s4, s0
	v_lshl_or_b32 v14, v10, 16, v14
	v_cndmask_b32_e64 v11, 0, 1, vcc_lo
	v_med3_i32 v15, v2, 0, 13
	v_or_b32_e32 v13, 0x1000, v8
	v_cmp_gt_i32_e32 vcc_lo, 1, v12
	v_cvt_f32_f16_e32 v2, v3
	v_or_b32_e32 v11, v18, v11
	s_mul_i32 s5, s8, 0x44
	v_lshrrev_b32_e32 v18, v15, v13
	global_store_dword v[0:1], v20, off
	v_cvt_f64_f32_e32 v[2:3], v2
	v_cndmask_b32_e32 v11, v17, v11, vcc_lo
	v_mul_f64 v[6:7], v[6:7], s[2:3]
	v_lshlrev_b32_e32 v15, v15, v18
	v_and_b32_e32 v17, 7, v11
	v_lshrrev_b32_e32 v11, 2, v11
	v_cmp_ne_u32_e64 s1, v15, v13
	v_add_nc_u32_e32 v15, 0xfffffc10, v16
	v_cmp_lt_i32_e32 vcc_lo, 5, v17
	v_cmp_eq_u32_e64 s0, 3, v17
	v_cndmask_b32_e64 v10, 0, 1, s1
	v_lshl_or_b32 v16, v15, 12, v8
	v_add_co_u32 v0, s1, v0, s5
	s_or_b32 vcc_lo, s0, vcc_lo
	v_or_b32_e32 v13, v18, v10
	v_add_co_ci_u32_e32 v17, vcc_lo, 0, v11, vcc_lo
	v_cmp_gt_i32_e32 vcc_lo, 1, v15
	v_mul_f64 v[2:3], v[2:3], s[2:3]
	v_add_co_ci_u32_e64 v1, s1, s4, v1, s1
	v_and_or_b32 v6, 0x1ff, v7, v6
	v_cndmask_b32_e32 v13, v16, v13, vcc_lo
	v_cmp_ne_u32_e32 vcc_lo, 0, v4
	ds_read2_b32 v[10:11], v31 offset0:68 offset1:85
	global_store_dword v[0:1], v14, off
	v_lshrrev_b32_e32 v14, 8, v7
	v_bfe_u32 v16, v7, 20, 11
	v_cndmask_b32_e64 v4, 0, 1, vcc_lo
	v_cmp_ne_u32_e32 vcc_lo, 0, v6
	v_cmp_eq_u32_e64 s1, 0x40f, v12
	v_and_b32_e32 v18, 7, v13
	v_lshrrev_b32_e32 v13, 2, v13
	v_lshl_or_b32 v4, v4, 9, 0x7c00
	v_cndmask_b32_e64 v6, 0, 1, vcc_lo
	v_cmp_gt_i32_e32 vcc_lo, 31, v12
	v_cmp_eq_u32_e64 s0, 3, v18
	v_and_or_b32 v6, 0xffe, v14, v6
	v_sub_nc_u32_e32 v14, 0x3f1, v16
	v_cndmask_b32_e32 v17, 0x7c00, v17, vcc_lo
	v_and_or_b32 v2, 0x1ff, v3, v2
	v_cmp_lt_i32_e32 vcc_lo, 5, v18
	v_or_b32_e32 v19, 0x1000, v6
	v_med3_i32 v14, v14, 0, 13
	v_cndmask_b32_e64 v17, v17, v4, s1
	s_waitcnt lgkmcnt(0)
	v_lshrrev_b32_e32 v18, 16, v10
	v_cmp_ne_u32_e64 s1, 0, v2
	s_or_b32 vcc_lo, s0, vcc_lo
	v_lshrrev_b32_e32 v4, v14, v19
	v_add_co_ci_u32_e32 v22, vcc_lo, 0, v13, vcc_lo
	v_mul_f16_sdwa v12, v42, v18 dst_sel:DWORD dst_unused:UNUSED_PAD src0_sel:WORD_1 src1_sel:DWORD
	v_cndmask_b32_e64 v2, 0, 1, s1
	v_lshlrev_b32_e32 v14, v14, v4
	v_lshrrev_b32_e32 v20, 8, v3
	v_bfe_u32 v21, v3, 20, 11
	v_fmac_f16_e32 v12, v42, v10
	v_add_nc_u32_e32 v16, 0xfffffc10, v16
	v_cmp_ne_u32_e32 vcc_lo, v14, v19
	v_and_or_b32 v2, 0xffe, v20, v2
	v_sub_nc_u32_e32 v20, 0x3f1, v21
	v_cvt_f32_f16_e32 v12, v12
	v_lshrrev_b32_e32 v3, 16, v3
	v_cndmask_b32_e64 v14, 0, 1, vcc_lo
	v_cmp_ne_u32_e32 vcc_lo, 0, v8
	v_or_b32_e32 v23, 0x1000, v2
	v_med3_i32 v20, v20, 0, 13
	v_cvt_f64_f32_e32 v[12:13], v12
	v_or_b32_e32 v4, v4, v14
	v_cndmask_b32_e64 v8, 0, 1, vcc_lo
	v_cmp_gt_i32_e32 vcc_lo, 31, v15
	v_lshrrev_b32_e32 v19, v20, v23
	v_lshl_or_b32 v14, v16, 12, v6
	v_lshl_or_b32 v8, v8, 9, 0x7c00
	v_cndmask_b32_e32 v22, 0x7c00, v22, vcc_lo
	v_cmp_gt_i32_e32 vcc_lo, 1, v16
	v_lshlrev_b32_e32 v20, v20, v19
	v_cndmask_b32_e32 v14, v14, v4, vcc_lo
	v_mul_f16_sdwa v4, v42, v10 dst_sel:DWORD dst_unused:UNUSED_PAD src0_sel:WORD_1 src1_sel:DWORD
	v_cmp_eq_u32_e32 vcc_lo, 0x40f, v15
	v_lshrrev_b32_e32 v10, 16, v5
	v_fma_f16 v4, v42, v18, -v4
	v_cndmask_b32_e32 v15, v22, v8, vcc_lo
	v_cmp_ne_u32_e32 vcc_lo, v20, v23
	v_lshrrev_b32_e32 v18, 16, v9
	v_and_b32_e32 v22, 7, v14
	v_cvt_f32_f16_e32 v9, v4
	v_add_nc_u32_e32 v20, 0xfffffc10, v21
	v_cndmask_b32_e64 v8, 0, 1, vcc_lo
	v_mul_f64 v[4:5], v[12:13], s[2:3]
	v_cmp_lt_i32_e32 vcc_lo, 5, v22
	v_cmp_eq_u32_e64 s0, 3, v22
	v_lshl_or_b32 v13, v20, 12, v2
	v_or_b32_e32 v12, v19, v8
	v_cvt_f64_f32_e32 v[8:9], v9
	v_lshrrev_b32_e32 v14, 2, v14
	v_cmp_gt_i32_e64 s1, 1, v20
	s_or_b32 vcc_lo, s0, vcc_lo
	v_and_or_b32 v10, 0x8000, v10, v17
	v_cndmask_b32_e64 v12, v13, v12, s1
	v_add_co_ci_u32_e32 v13, vcc_lo, 0, v14, vcc_lo
	v_cmp_ne_u32_e32 vcc_lo, 0, v6
	v_and_or_b32 v14, 0x8000, v18, v15
	v_and_b32_e32 v15, 7, v12
	v_and_b32_e32 v10, 0xffff, v10
	v_cmp_eq_u32_e64 s1, 0x40f, v16
	v_cndmask_b32_e64 v6, 0, 1, vcc_lo
	v_cmp_gt_i32_e32 vcc_lo, 31, v16
	v_cmp_eq_u32_e64 s0, 3, v15
	v_lshl_or_b32 v14, v14, 16, v10
	v_lshrrev_b32_e32 v10, 2, v12
	v_lshl_or_b32 v6, v6, 9, 0x7c00
	v_cndmask_b32_e32 v13, 0x7c00, v13, vcc_lo
	v_cmp_lt_i32_e32 vcc_lo, 5, v15
	v_mul_f64 v[8:9], v[8:9], s[2:3]
	v_and_or_b32 v4, 0x1ff, v5, v4
	v_bfe_u32 v15, v5, 20, 11
	v_cndmask_b32_e64 v12, v13, v6, s1
	s_or_b32 vcc_lo, s0, vcc_lo
	v_lshrrev_b32_e32 v13, 8, v5
	v_add_co_ci_u32_e32 v6, vcc_lo, 0, v10, vcc_lo
	v_lshrrev_b32_e32 v10, 16, v11
	v_cmp_ne_u32_e32 vcc_lo, 0, v4
	v_lshrrev_b32_e32 v18, 16, v7
	v_lshrrev_b32_e32 v5, 16, v5
	v_mul_f16_sdwa v16, v41, v10 dst_sel:DWORD dst_unused:UNUSED_PAD src0_sel:WORD_1 src1_sel:DWORD
	v_cndmask_b32_e64 v4, 0, 1, vcc_lo
	v_cmp_ne_u32_e32 vcc_lo, 0, v2
	v_and_or_b32 v12, 0x8000, v18, v12
	v_fmac_f16_e32 v16, v41, v11
	v_and_or_b32 v4, 0xffe, v13, v4
	v_cndmask_b32_e64 v2, 0, 1, vcc_lo
	v_cmp_gt_i32_e32 vcc_lo, 31, v20
	v_sub_nc_u32_e32 v13, 0x3f1, v15
	v_cvt_f32_f16_e32 v16, v16
	v_or_b32_e32 v17, 0x1000, v4
	v_lshl_or_b32 v2, v2, 9, 0x7c00
	v_cndmask_b32_e32 v6, 0x7c00, v6, vcc_lo
	v_cmp_eq_u32_e32 vcc_lo, 0x40f, v20
	v_med3_i32 v13, v13, 0, 13
	v_and_or_b32 v8, 0x1ff, v9, v8
	v_bfe_u32 v20, v9, 20, 11
	v_cndmask_b32_e32 v2, v6, v2, vcc_lo
	v_cvt_f64_f32_e32 v[6:7], v16
	v_lshrrev_b32_e32 v19, v13, v17
	v_cmp_ne_u32_e32 vcc_lo, 0, v8
	v_lshrrev_b32_e32 v16, 8, v9
	v_and_or_b32 v18, 0x8000, v3, v2
	v_sub_nc_u32_e32 v2, 0x3f1, v20
	v_lshlrev_b32_e32 v13, v13, v19
	v_cndmask_b32_e64 v8, 0, 1, vcc_lo
	v_lshrrev_b32_e32 v9, 16, v9
	v_cmp_ne_u32_e32 vcc_lo, v13, v17
	v_and_or_b32 v8, 0xffe, v16, v8
	v_add_nc_u32_e32 v13, 0xfffffc10, v15
	v_med3_i32 v16, v2, 0, 13
	v_mul_f16_sdwa v2, v41, v11 dst_sel:DWORD dst_unused:UNUSED_PAD src0_sel:WORD_1 src1_sel:DWORD
	v_cndmask_b32_e64 v3, 0, 1, vcc_lo
	v_or_b32_e32 v15, 0x1000, v8
	v_and_b32_e32 v11, 0xffff, v12
	v_lshl_or_b32 v17, v13, 12, v4
	v_fma_f16 v10, v41, v10, -v2
	v_or_b32_e32 v12, v19, v3
	v_lshrrev_b32_e32 v19, v16, v15
	v_mul_f64 v[2:3], v[6:7], s[2:3]
	v_cmp_gt_i32_e32 vcc_lo, 1, v13
	v_cvt_f32_f16_e32 v6, v10
	v_lshlrev_b32_e32 v16, v16, v19
	v_cndmask_b32_e32 v12, v17, v12, vcc_lo
	v_add_co_u32 v0, vcc_lo, v0, s5
	v_add_co_ci_u32_e32 v1, vcc_lo, s4, v1, vcc_lo
	v_cmp_ne_u32_e32 vcc_lo, v16, v15
	v_cvt_f64_f32_e32 v[6:7], v6
	v_add_nc_u32_e32 v16, 0xfffffc10, v20
	v_lshl_or_b32 v17, v18, 16, v11
	v_and_b32_e32 v18, 7, v12
	v_cndmask_b32_e64 v15, 0, 1, vcc_lo
	v_add_co_u32 v10, vcc_lo, v0, s5
	v_add_co_ci_u32_e32 v11, vcc_lo, s4, v1, vcc_lo
	global_store_dword v[0:1], v14, off
	v_or_b32_e32 v0, v19, v15
	v_lshl_or_b32 v1, v16, 12, v8
	v_cmp_gt_i32_e64 s1, 1, v16
	v_cmp_lt_i32_e32 vcc_lo, 5, v18
	v_cmp_eq_u32_e64 s0, 3, v18
	v_and_or_b32 v2, 0x1ff, v3, v2
	v_lshrrev_b32_e32 v12, 2, v12
	v_cndmask_b32_e64 v14, v1, v0, s1
	ds_read2_b32 v[0:1], v31 offset0:102 offset1:119
	s_or_b32 vcc_lo, s0, vcc_lo
	v_cmp_ne_u32_e64 s1, 0, v2
	v_add_co_ci_u32_e32 v12, vcc_lo, 0, v12, vcc_lo
	v_and_b32_e32 v19, 7, v14
	v_cmp_ne_u32_e32 vcc_lo, 0, v4
	v_cndmask_b32_e64 v2, 0, 1, s1
	v_lshrrev_b32_e32 v15, 8, v3
	v_bfe_u32 v18, v3, 20, 11
	v_cmp_eq_u32_e64 s0, 3, v19
	v_cndmask_b32_e64 v4, 0, 1, vcc_lo
	v_cmp_lt_i32_e32 vcc_lo, 5, v19
	v_mul_f64 v[6:7], v[6:7], s[2:3]
	v_lshrrev_b32_e32 v14, 2, v14
	v_and_or_b32 v2, 0xffe, v15, v2
	v_sub_nc_u32_e32 v15, 0x3f1, v18
	v_cmp_gt_i32_e64 s1, 31, v13
	s_or_b32 vcc_lo, s0, vcc_lo
	v_lshl_or_b32 v4, v4, 9, 0x7c00
	v_add_co_ci_u32_e32 v14, vcc_lo, 0, v14, vcc_lo
	v_or_b32_e32 v20, 0x1000, v2
	v_med3_i32 v15, v15, 0, 13
	v_cndmask_b32_e64 v12, 0x7c00, v12, s1
	v_cmp_eq_u32_e32 vcc_lo, 0x40f, v13
	s_waitcnt lgkmcnt(0)
	v_lshrrev_b32_e32 v21, 16, v0
	v_add_nc_u32_e32 v18, 0xfffffc10, v18
	v_lshrrev_b32_e32 v19, v15, v20
	global_store_dword v[10:11], v17, off
	v_cndmask_b32_e32 v4, v12, v4, vcc_lo
	v_cmp_gt_i32_e32 vcc_lo, 31, v16
	v_mul_f16_sdwa v12, v40, v21 dst_sel:DWORD dst_unused:UNUSED_PAD src0_sel:WORD_1 src1_sel:DWORD
	v_lshlrev_b32_e32 v13, v15, v19
	v_lshrrev_b32_e32 v17, 16, v1
	v_and_or_b32 v6, 0x1ff, v7, v6
	v_cndmask_b32_e32 v14, 0x7c00, v14, vcc_lo
	v_cmp_ne_u32_e32 vcc_lo, 0, v8
	v_fmac_f16_e32 v12, v40, v0
	v_bfe_u32 v22, v7, 20, 11
	v_mul_f16_sdwa v0, v40, v0 dst_sel:DWORD dst_unused:UNUSED_PAD src0_sel:WORD_1 src1_sel:DWORD
	v_cndmask_b32_e64 v8, 0, 1, vcc_lo
	v_cmp_ne_u32_e32 vcc_lo, v13, v20
	v_cvt_f32_f16_e32 v12, v12
	v_lshrrev_b32_e32 v20, 8, v7
	v_fma_f16 v0, v40, v21, -v0
	v_lshl_or_b32 v8, v8, 9, 0x7c00
	v_cndmask_b32_e64 v15, 0, 1, vcc_lo
	v_cmp_ne_u32_e32 vcc_lo, 0, v6
	v_cvt_f64_f32_e32 v[12:13], v12
	v_cvt_f32_f16_e32 v0, v0
	v_or_b32_e32 v15, v19, v15
	v_cndmask_b32_e64 v6, 0, 1, vcc_lo
	v_lshl_or_b32 v19, v18, 12, v2
	v_cmp_gt_i32_e32 vcc_lo, 1, v18
	v_and_or_b32 v6, 0xffe, v20, v6
	v_sub_nc_u32_e32 v20, 0x3f1, v22
	v_cndmask_b32_e32 v15, v19, v15, vcc_lo
	v_cmp_eq_u32_e32 vcc_lo, 0x40f, v16
	v_and_or_b32 v19, 0x8000, v5, v4
	v_or_b32_e32 v23, 0x1000, v6
	v_med3_i32 v20, v20, 0, 13
	v_and_b32_e32 v16, 7, v15
	v_cndmask_b32_e32 v8, v14, v8, vcc_lo
	v_lshrrev_b32_e32 v15, 2, v15
	v_lshrrev_b32_e32 v14, v20, v23
	v_cmp_lt_i32_e32 vcc_lo, 5, v16
	v_and_or_b32 v21, 0x8000, v9, v8
	v_cvt_f64_f32_e32 v[8:9], v0
	v_mul_f64 v[4:5], v[12:13], s[2:3]
	v_lshlrev_b32_e32 v20, v20, v14
	v_add_nc_u32_e32 v12, 0xfffffc10, v22
	v_and_b32_e32 v13, 0xffff, v19
	v_cmp_ne_u32_e64 s0, v20, v23
	v_lshl_or_b32 v13, v21, 16, v13
	v_cndmask_b32_e64 v0, 0, 1, s0
	v_cmp_eq_u32_e64 s0, 3, v16
	v_lshrrev_b32_e32 v16, 16, v3
	v_or_b32_e32 v0, v14, v0
	s_or_b32 vcc_lo, s0, vcc_lo
	v_lshl_or_b32 v14, v12, 12, v6
	v_add_co_ci_u32_e32 v15, vcc_lo, 0, v15, vcc_lo
	v_cmp_ne_u32_e32 vcc_lo, 0, v2
	v_mul_f64 v[8:9], v[8:9], s[2:3]
	v_and_or_b32 v4, 0x1ff, v5, v4
	v_lshrrev_b32_e32 v3, 8, v5
	v_lshrrev_b32_e32 v24, 16, v5
	v_cndmask_b32_e64 v2, 0, 1, vcc_lo
	v_cmp_gt_i32_e32 vcc_lo, 1, v12
	v_cmp_ne_u32_e64 s0, 0, v4
	v_bfe_u32 v4, v5, 20, 11
	v_lshl_or_b32 v2, v2, 9, 0x7c00
	v_cndmask_b32_e32 v0, v14, v0, vcc_lo
	v_cmp_gt_i32_e32 vcc_lo, 31, v18
	v_cndmask_b32_e32 v14, 0x7c00, v15, vcc_lo
	v_cmp_eq_u32_e32 vcc_lo, 0x40f, v18
	v_and_b32_e32 v15, 7, v0
	v_lshrrev_b32_e32 v0, 2, v0
	v_cndmask_b32_e32 v14, v14, v2, vcc_lo
	v_cndmask_b32_e64 v2, 0, 1, s0
	v_cmp_lt_i32_e32 vcc_lo, 5, v15
	v_cmp_eq_u32_e64 s0, 3, v15
	v_lshrrev_b32_e32 v21, 8, v9
	v_bfe_u32 v22, v9, 20, 11
	v_and_or_b32 v15, 0xffe, v3, v2
	v_sub_nc_u32_e32 v2, 0x3f1, v4
	s_or_b32 vcc_lo, s0, vcc_lo
	v_mul_f16_sdwa v3, v39, v17 dst_sel:DWORD dst_unused:UNUSED_PAD src0_sel:WORD_1 src1_sel:DWORD
	v_add_co_ci_u32_e32 v0, vcc_lo, 0, v0, vcc_lo
	v_med3_i32 v19, v2, 0, 13
	v_and_or_b32 v2, 0x1ff, v9, v8
	v_cmp_ne_u32_e32 vcc_lo, 0, v6
	v_fmac_f16_e32 v3, v39, v1
	v_or_b32_e32 v18, 0x1000, v15
	v_and_or_b32 v14, 0x8000, v16, v14
	v_sub_nc_u32_e32 v16, 0x3f1, v22
	v_cndmask_b32_e64 v6, 0, 1, vcc_lo
	v_cmp_ne_u32_e32 vcc_lo, 0, v2
	v_cvt_f32_f16_e32 v3, v3
	v_lshrrev_b32_e32 v8, v19, v18
	v_add_nc_u32_e32 v4, 0xfffffc10, v4
	v_lshl_or_b32 v6, v6, 9, 0x7c00
	v_cndmask_b32_e64 v20, 0, 1, vcc_lo
	v_cmp_gt_i32_e32 vcc_lo, 31, v12
	v_cvt_f64_f32_e32 v[2:3], v3
	v_lshlrev_b32_e32 v19, v19, v8
	v_med3_i32 v16, v16, 0, 13
	v_and_or_b32 v20, 0xffe, v21, v20
	v_cndmask_b32_e32 v0, 0x7c00, v0, vcc_lo
	v_cmp_eq_u32_e32 vcc_lo, 0x40f, v12
	v_cndmask_b32_e32 v12, v0, v6, vcc_lo
	v_mul_f16_sdwa v0, v39, v1 dst_sel:DWORD dst_unused:UNUSED_PAD src0_sel:WORD_1 src1_sel:DWORD
	v_cmp_ne_u32_e32 vcc_lo, v19, v18
	v_or_b32_e32 v18, 0x1000, v20
	v_fma_f16 v0, v39, v17, -v0
	v_cndmask_b32_e64 v1, 0, 1, vcc_lo
	v_lshrrev_b32_e32 v17, 16, v7
	v_lshl_or_b32 v7, v4, 12, v15
	v_lshrrev_b32_e32 v19, v16, v18
	v_cmp_gt_i32_e32 vcc_lo, 1, v4
	v_or_b32_e32 v6, v8, v1
	v_cvt_f32_f16_e32 v8, v0
	v_mul_f64 v[0:1], v[2:3], s[2:3]
	v_cndmask_b32_e32 v21, v7, v6, vcc_lo
	v_cvt_f64_f32_e32 v[2:3], v8
	v_lshlrev_b32_e32 v8, v16, v19
	v_add_co_u32 v6, vcc_lo, v10, s5
	v_add_co_ci_u32_e32 v7, vcc_lo, s4, v11, vcc_lo
	v_and_b32_e32 v11, 7, v21
	v_cmp_ne_u32_e32 vcc_lo, v8, v18
	v_and_or_b32 v10, 0x8000, v17, v12
	v_and_b32_e32 v12, 0xffff, v14
	v_add_nc_u32_e32 v14, 0xfffffc10, v22
	v_cmp_eq_u32_e64 s0, 3, v11
	v_cndmask_b32_e64 v8, 0, 1, vcc_lo
	v_cmp_lt_i32_e32 vcc_lo, 5, v11
	v_lshl_or_b32 v12, v10, 16, v12
	v_lshrrev_b32_e32 v10, 2, v21
	global_store_dword v[6:7], v13, off
	v_or_b32_e32 v8, v19, v8
	s_or_b32 vcc_lo, s0, vcc_lo
	v_lshl_or_b32 v13, v14, 12, v20
	v_add_co_ci_u32_e32 v16, vcc_lo, 0, v10, vcc_lo
	v_cmp_ne_u32_e32 vcc_lo, 0, v15
	ds_read2_b32 v[10:11], v31 offset0:136 offset1:153
	v_and_or_b32 v0, 0x1ff, v1, v0
	v_mul_f64 v[2:3], v[2:3], s[2:3]
	v_bfe_u32 v17, v1, 20, 11
	v_cndmask_b32_e64 v15, 0, 1, vcc_lo
	v_add_co_u32 v6, vcc_lo, v6, s5
	v_add_co_ci_u32_e32 v7, vcc_lo, s4, v7, vcc_lo
	v_cmp_gt_i32_e32 vcc_lo, 1, v14
	v_lshl_or_b32 v15, v15, 9, 0x7c00
	global_store_dword v[6:7], v12, off
	v_sub_nc_u32_e32 v12, 0x3f1, v17
	v_cndmask_b32_e32 v8, v13, v8, vcc_lo
	v_cmp_gt_i32_e32 vcc_lo, 31, v4
	v_add_nc_u32_e32 v17, 0xfffffc10, v17
	v_med3_i32 v12, v12, 0, 13
	v_and_b32_e32 v18, 7, v8
	v_cndmask_b32_e32 v13, 0x7c00, v16, vcc_lo
	v_cmp_ne_u32_e32 vcc_lo, 0, v0
	v_lshrrev_b32_e32 v16, 8, v1
	v_lshrrev_b32_e32 v8, 2, v8
	v_cmp_eq_u32_e64 s0, 3, v18
	v_and_or_b32 v2, 0x1ff, v3, v2
	v_cndmask_b32_e64 v0, 0, 1, vcc_lo
	v_cmp_eq_u32_e32 vcc_lo, 0x40f, v4
	v_lshrrev_b32_e32 v21, 8, v3
	v_bfe_u32 v22, v3, 20, 11
	v_lshrrev_b32_e32 v3, 16, v3
	v_and_or_b32 v0, 0xffe, v16, v0
	v_cndmask_b32_e32 v15, v13, v15, vcc_lo
	v_cmp_lt_i32_e32 vcc_lo, 5, v18
	s_waitcnt lgkmcnt(0)
	v_lshrrev_b32_e32 v16, 16, v10
	v_or_b32_e32 v4, 0x1000, v0
	s_or_b32 vcc_lo, s0, vcc_lo
	v_mul_f16_sdwa v13, v38, v16 dst_sel:DWORD dst_unused:UNUSED_PAD src0_sel:WORD_1 src1_sel:DWORD
	v_add_co_ci_u32_e32 v8, vcc_lo, 0, v8, vcc_lo
	v_cmp_ne_u32_e32 vcc_lo, 0, v20
	v_lshrrev_b32_e32 v18, v12, v4
	v_fmac_f16_e32 v13, v38, v10
	v_mul_f16_sdwa v10, v38, v10 dst_sel:DWORD dst_unused:UNUSED_PAD src0_sel:WORD_1 src1_sel:DWORD
	v_cndmask_b32_e64 v20, 0, 1, vcc_lo
	v_cmp_ne_u32_e32 vcc_lo, 0, v2
	v_lshlrev_b32_e32 v19, v12, v18
	v_cvt_f32_f16_e32 v12, v13
	v_fma_f16 v5, v38, v16, -v10
	v_lshl_or_b32 v20, v20, 9, 0x7c00
	v_cndmask_b32_e64 v2, 0, 1, vcc_lo
	v_cmp_gt_i32_e32 vcc_lo, 31, v14
	v_cvt_f64_f32_e32 v[12:13], v12
	v_lshrrev_b32_e32 v16, 16, v9
	v_and_or_b32 v2, 0xffe, v21, v2
	v_cndmask_b32_e32 v8, 0x7c00, v8, vcc_lo
	v_cmp_ne_u32_e32 vcc_lo, v19, v4
	v_sub_nc_u32_e32 v21, 0x3f1, v22
	v_or_b32_e32 v19, 0x1000, v2
	v_cndmask_b32_e64 v4, 0, 1, vcc_lo
	v_med3_i32 v21, v21, 0, 13
	v_cmp_gt_i32_e32 vcc_lo, 1, v17
	v_or_b32_e32 v4, v18, v4
	v_lshl_or_b32 v18, v17, 12, v0
	v_lshrrev_b32_e32 v23, v21, v19
	v_cndmask_b32_e32 v10, v18, v4, vcc_lo
	v_cmp_eq_u32_e32 vcc_lo, 0x40f, v14
	v_and_b32_e32 v18, 7, v10
	v_cndmask_b32_e32 v14, v8, v20, vcc_lo
	v_cvt_f32_f16_e32 v8, v5
	v_mul_f64 v[4:5], v[12:13], s[2:3]
	v_lshlrev_b32_e32 v12, v21, v23
	v_cmp_lt_i32_e32 vcc_lo, 5, v18
	v_lshrrev_b32_e32 v10, 2, v10
	v_cvt_f64_f32_e32 v[8:9], v8
	v_and_or_b32 v13, 0x8000, v24, v15
	v_cmp_ne_u32_e64 s0, v12, v19
	v_add_nc_u32_e32 v15, 0xfffffc10, v22
	v_and_or_b32 v14, 0x8000, v16, v14
	v_and_b32_e32 v13, 0xffff, v13
	v_cndmask_b32_e64 v12, 0, 1, s0
	v_cmp_eq_u32_e64 s0, 3, v18
	v_lshl_or_b32 v16, v15, 12, v2
	v_lshl_or_b32 v13, v14, 16, v13
	v_or_b32_e32 v12, v23, v12
	s_or_b32 vcc_lo, s0, vcc_lo
	v_lshrrev_b32_e32 v14, 16, v11
	v_add_co_ci_u32_e32 v10, vcc_lo, 0, v10, vcc_lo
	v_cmp_ne_u32_e32 vcc_lo, 0, v0
	v_and_or_b32 v4, 0x1ff, v5, v4
	v_bfe_u32 v18, v5, 20, 11
	v_mul_f16_sdwa v20, v37, v14 dst_sel:DWORD dst_unused:UNUSED_PAD src0_sel:WORD_1 src1_sel:DWORD
	v_cndmask_b32_e64 v0, 0, 1, vcc_lo
	v_cmp_gt_i32_e32 vcc_lo, 1, v15
	v_mul_f64 v[8:9], v[8:9], s[2:3]
	v_fmac_f16_e32 v20, v37, v11
	v_mul_f16_sdwa v11, v37, v11 dst_sel:DWORD dst_unused:UNUSED_PAD src0_sel:WORD_1 src1_sel:DWORD
	v_lshl_or_b32 v0, v0, 9, 0x7c00
	v_cndmask_b32_e32 v12, v16, v12, vcc_lo
	v_cmp_gt_i32_e32 vcc_lo, 31, v17
	v_lshrrev_b32_e32 v16, 8, v5
	v_fma_f16 v11, v37, v14, -v11
	v_and_b32_e32 v19, 7, v12
	v_cndmask_b32_e32 v10, 0x7c00, v10, vcc_lo
	v_cmp_ne_u32_e32 vcc_lo, 0, v4
	v_lshrrev_b32_e32 v12, 2, v12
	v_cvt_f32_f16_e32 v11, v11
	v_cmp_eq_u32_e64 s0, 3, v19
	v_cndmask_b32_e64 v4, 0, 1, vcc_lo
	v_add_co_u32 v6, vcc_lo, v6, s5
	v_add_co_ci_u32_e32 v7, vcc_lo, s4, v7, vcc_lo
	v_cmp_eq_u32_e32 vcc_lo, 0x40f, v17
	v_and_or_b32 v4, 0xffe, v16, v4
	v_sub_nc_u32_e32 v16, 0x3f1, v18
	v_and_or_b32 v8, 0x1ff, v9, v8
	v_lshrrev_b32_e32 v17, 16, v1
	v_cndmask_b32_e32 v10, v10, v0, vcc_lo
	v_cmp_lt_i32_e32 vcc_lo, 5, v19
	v_or_b32_e32 v21, 0x1000, v4
	v_med3_i32 v16, v16, 0, 13
	v_cvt_f32_f16_e32 v0, v20
	v_lshrrev_b32_e32 v19, 8, v9
	s_or_b32 vcc_lo, s0, vcc_lo
	v_bfe_u32 v22, v9, 20, 11
	v_add_co_ci_u32_e32 v12, vcc_lo, 0, v12, vcc_lo
	v_cmp_ne_u32_e32 vcc_lo, 0, v8
	v_lshrrev_b32_e32 v20, v16, v21
	v_cvt_f64_f32_e32 v[0:1], v0
	v_add_nc_u32_e32 v18, 0xfffffc10, v18
	v_and_or_b32 v10, 0x8000, v17, v10
	v_cndmask_b32_e64 v8, 0, 1, vcc_lo
	v_cmp_ne_u32_e32 vcc_lo, 0, v2
	v_lshlrev_b32_e32 v16, v16, v20
	global_store_dword v[6:7], v13, off
	v_and_b32_e32 v17, 0xffff, v10
	v_and_or_b32 v8, 0xffe, v19, v8
	v_cndmask_b32_e64 v2, 0, 1, vcc_lo
	v_cmp_gt_i32_e32 vcc_lo, 31, v15
	v_sub_nc_u32_e32 v19, 0x3f1, v22
	v_lshrrev_b32_e32 v9, 16, v9
	v_lshl_or_b32 v2, v2, 9, 0x7c00
	v_cndmask_b32_e32 v12, 0x7c00, v12, vcc_lo
	v_cmp_ne_u32_e32 vcc_lo, v16, v21
	v_or_b32_e32 v21, 0x1000, v8
	v_med3_i32 v19, v19, 0, 13
	v_cndmask_b32_e64 v16, 0, 1, vcc_lo
	v_cmp_gt_i32_e32 vcc_lo, 1, v18
	v_lshrrev_b32_e32 v23, v19, v21
	v_mul_f64 v[0:1], v[0:1], s[2:3]
	v_or_b32_e32 v16, v20, v16
	v_lshl_or_b32 v20, v18, 12, v4
	v_lshlrev_b32_e32 v14, v19, v23
	v_cndmask_b32_e32 v16, v20, v16, vcc_lo
	v_cmp_eq_u32_e32 vcc_lo, 0x40f, v15
	v_cmp_ne_u32_e64 s0, v14, v21
	v_lshrrev_b32_e32 v13, 2, v16
	v_cndmask_b32_e32 v2, v12, v2, vcc_lo
	v_and_b32_e32 v12, 7, v16
	v_cndmask_b32_e64 v10, 0, 1, s0
	v_and_or_b32 v15, 0x8000, v3, v2
	v_cmp_lt_i32_e32 vcc_lo, 5, v12
	v_cmp_eq_u32_e64 s0, 3, v12
	v_cvt_f64_f32_e32 v[2:3], v11
	v_add_nc_u32_e32 v12, 0xfffffc10, v22
	v_or_b32_e32 v14, v23, v10
	v_and_or_b32 v0, 0x1ff, v1, v0
	s_or_b32 vcc_lo, s0, vcc_lo
	ds_read2_b32 v[10:11], v31 offset0:170 offset1:187
	v_add_co_ci_u32_e32 v13, vcc_lo, 0, v13, vcc_lo
	v_cmp_ne_u32_e32 vcc_lo, 0, v4
	v_lshl_or_b32 v16, v12, 12, v8
	v_bfe_u32 v19, v1, 20, 11
	v_lshl_or_b32 v15, v15, 16, v17
	v_cndmask_b32_e64 v4, 0, 1, vcc_lo
	v_cmp_gt_i32_e32 vcc_lo, 1, v12
	v_lshl_or_b32 v4, v4, 9, 0x7c00
	v_cndmask_b32_e32 v14, v16, v14, vcc_lo
	v_cmp_ne_u32_e32 vcc_lo, 0, v0
	v_lshrrev_b32_e32 v16, 8, v1
	v_mul_f64 v[2:3], v[2:3], s[2:3]
	v_lshrrev_b32_e32 v1, 16, v1
	v_and_b32_e32 v20, 7, v14
	v_cndmask_b32_e64 v0, 0, 1, vcc_lo
	v_cmp_gt_i32_e32 vcc_lo, 31, v18
	s_waitcnt lgkmcnt(0)
	v_lshrrev_b32_e32 v17, 16, v10
	v_cmp_eq_u32_e64 s0, 3, v20
	v_and_or_b32 v0, 0xffe, v16, v0
	v_cndmask_b32_e32 v13, 0x7c00, v13, vcc_lo
	v_cmp_eq_u32_e32 vcc_lo, 0x40f, v18
	v_sub_nc_u32_e32 v16, 0x3f1, v19
	v_add_nc_u32_e32 v19, 0xfffffc10, v19
	v_or_b32_e32 v18, 0x1000, v0
	v_cndmask_b32_e32 v13, v13, v4, vcc_lo
	v_cmp_lt_i32_e32 vcc_lo, 5, v20
	v_lshrrev_b32_e32 v20, 16, v5
	v_lshrrev_b32_e32 v5, 2, v14
	v_med3_i32 v4, v16, 0, 13
	v_mul_f16_sdwa v16, v36, v17 dst_sel:DWORD dst_unused:UNUSED_PAD src0_sel:WORD_1 src1_sel:DWORD
	s_or_b32 vcc_lo, s0, vcc_lo
	v_and_or_b32 v2, 0x1ff, v3, v2
	v_add_co_ci_u32_e32 v5, vcc_lo, 0, v5, vcc_lo
	v_cmp_ne_u32_e32 vcc_lo, 0, v8
	v_fmac_f16_e32 v16, v36, v10
	v_lshrrev_b32_e32 v14, v4, v18
	v_bfe_u32 v23, v3, 20, 11
	v_mul_f16_sdwa v10, v36, v10 dst_sel:DWORD dst_unused:UNUSED_PAD src0_sel:WORD_1 src1_sel:DWORD
	v_cndmask_b32_e64 v8, 0, 1, vcc_lo
	v_cmp_gt_i32_e32 vcc_lo, 31, v12
	v_cvt_f32_f16_e32 v16, v16
	v_lshlrev_b32_e32 v21, v4, v14
	v_fma_f16 v10, v36, v17, -v10
	v_lshl_or_b32 v8, v8, 9, 0x7c00
	v_cndmask_b32_e32 v22, 0x7c00, v5, vcc_lo
	v_cmp_ne_u32_e32 vcc_lo, 0, v2
	v_cvt_f64_f32_e32 v[4:5], v16
	v_lshrrev_b32_e32 v16, 8, v3
	v_and_or_b32 v13, 0x8000, v20, v13
	v_lshrrev_b32_e32 v3, 16, v3
	v_cndmask_b32_e64 v2, 0, 1, vcc_lo
	v_cmp_ne_u32_e32 vcc_lo, v21, v18
	v_and_b32_e32 v13, 0xffff, v13
	v_and_or_b32 v2, 0xffe, v16, v2
	v_sub_nc_u32_e32 v16, 0x3f1, v23
	v_cndmask_b32_e64 v18, 0, 1, vcc_lo
	v_cmp_eq_u32_e32 vcc_lo, 0x40f, v12
	v_or_b32_e32 v21, 0x1000, v2
	v_med3_i32 v16, v16, 0, 13
	v_or_b32_e32 v14, v14, v18
	v_lshl_or_b32 v18, v19, 12, v0
	v_cndmask_b32_e32 v8, v22, v8, vcc_lo
	v_cmp_gt_i32_e32 vcc_lo, 1, v19
	v_lshrrev_b32_e32 v12, v16, v21
	v_mul_f64 v[4:5], v[4:5], s[2:3]
	v_and_or_b32 v17, 0x8000, v9, v8
	v_cndmask_b32_e32 v14, v18, v14, vcc_lo
	v_lshlrev_b32_e32 v16, v16, v12
	v_add_co_u32 v6, vcc_lo, v6, s5
	v_add_co_ci_u32_e32 v7, vcc_lo, s4, v7, vcc_lo
	v_and_b32_e32 v18, 7, v14
	v_cmp_ne_u32_e64 s0, v16, v21
	v_cvt_f32_f16_e32 v8, v10
	v_lshrrev_b32_e32 v14, 2, v14
	global_store_dword v[6:7], v15, off
	v_cmp_lt_i32_e32 vcc_lo, 5, v18
	v_cndmask_b32_e64 v10, 0, 1, s0
	v_cmp_eq_u32_e64 s0, 3, v18
	v_cvt_f64_f32_e32 v[8:9], v8
	v_add_nc_u32_e32 v15, 0xfffffc10, v23
	v_lshl_or_b32 v16, v17, 16, v13
	v_or_b32_e32 v10, v12, v10
	s_or_b32 vcc_lo, s0, vcc_lo
	v_add_co_ci_u32_e32 v14, vcc_lo, 0, v14, vcc_lo
	v_cmp_ne_u32_e32 vcc_lo, 0, v0
	v_lshl_or_b32 v12, v15, 12, v2
	v_and_or_b32 v4, 0x1ff, v5, v4
	v_lshrrev_b32_e32 v13, 8, v5
	v_cndmask_b32_e64 v0, 0, 1, vcc_lo
	v_cmp_gt_i32_e32 vcc_lo, 1, v15
	v_lshl_or_b32 v0, v0, 9, 0x7c00
	v_cndmask_b32_e32 v10, v12, v10, vcc_lo
	v_cmp_gt_i32_e32 vcc_lo, 31, v19
	v_mul_f64 v[8:9], v[8:9], s[2:3]
	v_and_b32_e32 v17, 7, v10
	v_cndmask_b32_e32 v12, 0x7c00, v14, vcc_lo
	v_cmp_ne_u32_e32 vcc_lo, 0, v4
	v_lshrrev_b32_e32 v10, 2, v10
	v_bfe_u32 v14, v5, 20, 11
	v_cmp_eq_u32_e64 s0, 3, v17
	v_cndmask_b32_e64 v4, 0, 1, vcc_lo
	v_cmp_eq_u32_e32 vcc_lo, 0x40f, v19
	v_and_or_b32 v4, 0xffe, v13, v4
	v_cndmask_b32_e32 v0, v12, v0, vcc_lo
	v_cmp_lt_i32_e32 vcc_lo, 5, v17
	v_sub_nc_u32_e32 v12, 0x3f1, v14
	v_lshrrev_b32_e32 v17, 16, v11
	v_or_b32_e32 v13, 0x1000, v4
	v_and_or_b32 v20, 0x8000, v1, v0
	s_or_b32 vcc_lo, s0, vcc_lo
	v_med3_i32 v12, v12, 0, 13
	v_add_co_ci_u32_e32 v10, vcc_lo, 0, v10, vcc_lo
	v_cmp_ne_u32_e32 vcc_lo, 0, v2
	v_mul_f16_sdwa v18, v35, v17 dst_sel:DWORD dst_unused:UNUSED_PAD src0_sel:WORD_1 src1_sel:DWORD
	v_lshrrev_b32_e32 v19, v12, v13
	v_and_or_b32 v8, 0x1ff, v9, v8
	v_add_nc_u32_e32 v14, 0xfffffc10, v14
	v_cndmask_b32_e64 v2, 0, 1, vcc_lo
	v_cmp_gt_i32_e32 vcc_lo, 31, v15
	v_fmac_f16_e32 v18, v35, v11
	v_lshlrev_b32_e32 v12, v12, v19
	v_mul_f16_sdwa v11, v35, v11 dst_sel:DWORD dst_unused:UNUSED_PAD src0_sel:WORD_1 src1_sel:DWORD
	v_lshl_or_b32 v2, v2, 9, 0x7c00
	v_cndmask_b32_e32 v10, 0x7c00, v10, vcc_lo
	v_cmp_eq_u32_e32 vcc_lo, 0x40f, v15
	v_cvt_f32_f16_e32 v18, v18
	v_bfe_u32 v15, v9, 20, 11
	v_fma_f16 v11, v35, v17, -v11
	v_cndmask_b32_e32 v2, v10, v2, vcc_lo
	v_cmp_ne_u32_e32 vcc_lo, 0, v8
	v_lshrrev_b32_e32 v10, 8, v9
	v_cvt_f64_f32_e32 v[0:1], v18
	v_lshrrev_b32_e32 v9, 16, v9
	v_cndmask_b32_e64 v8, 0, 1, vcc_lo
	v_cmp_ne_u32_e32 vcc_lo, v12, v13
	v_lshl_or_b32 v13, v14, 12, v4
	v_and_or_b32 v8, 0xffe, v10, v8
	v_cndmask_b32_e64 v12, 0, 1, vcc_lo
	v_sub_nc_u32_e32 v10, 0x3f1, v15
	v_cmp_gt_i32_e32 vcc_lo, 1, v14
	v_add_nc_u32_e32 v15, 0xfffffc10, v15
	v_or_b32_e32 v18, 0x1000, v8
	v_or_b32_e32 v12, v19, v12
	v_med3_i32 v10, v10, 0, 13
	v_and_b32_e32 v19, 0xffff, v20
	v_cndmask_b32_e32 v12, v13, v12, vcc_lo
	v_lshrrev_b32_e32 v20, v10, v18
	v_and_or_b32 v13, 0x8000, v3, v2
	v_add_co_u32 v2, vcc_lo, v6, s5
	v_and_b32_e32 v17, 7, v12
	v_cvt_f32_f16_e32 v6, v11
	v_lshlrev_b32_e32 v10, v10, v20
	v_mul_f64 v[0:1], v[0:1], s[2:3]
	v_add_co_ci_u32_e32 v3, vcc_lo, s4, v7, vcc_lo
	v_cmp_lt_i32_e32 vcc_lo, 5, v17
	v_cmp_eq_u32_e64 s0, 3, v17
	v_cvt_f64_f32_e32 v[6:7], v6
	v_cmp_ne_u32_e64 s1, v10, v18
	v_lshrrev_b32_e32 v11, 2, v12
	v_lshl_or_b32 v19, v13, 16, v19
	s_or_b32 vcc_lo, s0, vcc_lo
	global_store_dword v[2:3], v16, off
	v_cndmask_b32_e64 v10, 0, 1, s1
	v_add_co_ci_u32_e32 v17, vcc_lo, 0, v11, vcc_lo
	v_cmp_ne_u32_e32 vcc_lo, 0, v4
	v_or_b32_e32 v18, v20, v10
	ds_read2_b32 v[10:11], v31 offset0:204 offset1:221
	v_lshl_or_b32 v20, v15, 12, v8
	v_cndmask_b32_e64 v4, 0, 1, vcc_lo
	v_add_co_u32 v12, vcc_lo, v2, s5
	v_add_co_ci_u32_e32 v13, vcc_lo, s4, v3, vcc_lo
	v_cmp_gt_i32_e32 vcc_lo, 1, v15
	v_and_or_b32 v0, 0x1ff, v1, v0
	v_lshl_or_b32 v4, v4, 9, 0x7c00
	v_mul_f64 v[6:7], v[6:7], s[2:3]
	v_lshrrev_b32_e32 v21, 8, v1
	v_cndmask_b32_e32 v18, v20, v18, vcc_lo
	v_cmp_gt_i32_e32 vcc_lo, 31, v14
	v_bfe_u32 v22, v1, 20, 11
	v_lshrrev_b32_e32 v1, 16, v1
	v_and_b32_e32 v20, 7, v18
	v_cndmask_b32_e32 v17, 0x7c00, v17, vcc_lo
	v_cmp_ne_u32_e32 vcc_lo, 0, v0
	s_waitcnt lgkmcnt(0)
	v_lshrrev_b32_e32 v23, 16, v10
	v_lshrrev_b32_e32 v18, 2, v18
	v_cmp_eq_u32_e64 s0, 3, v20
	v_cndmask_b32_e64 v0, 0, 1, vcc_lo
	v_cmp_eq_u32_e32 vcc_lo, 0x40f, v14
	v_and_or_b32 v0, 0xffe, v21, v0
	v_cndmask_b32_e32 v14, v17, v4, vcc_lo
	v_cmp_lt_i32_e32 vcc_lo, 5, v20
	v_mul_f16_sdwa v4, v34, v23 dst_sel:DWORD dst_unused:UNUSED_PAD src0_sel:WORD_1 src1_sel:DWORD
	v_lshrrev_b32_e32 v17, 16, v5
	v_sub_nc_u32_e32 v5, 0x3f1, v22
	v_and_or_b32 v6, 0x1ff, v7, v6
	s_or_b32 vcc_lo, s0, vcc_lo
	v_fmac_f16_e32 v4, v34, v10
	v_add_co_ci_u32_e32 v18, vcc_lo, 0, v18, vcc_lo
	v_cmp_ne_u32_e32 vcc_lo, 0, v8
	v_or_b32_e32 v20, 0x1000, v0
	v_cvt_f32_f16_e32 v4, v4
	v_med3_i32 v21, v5, 0, 13
	v_lshrrev_b32_e32 v25, 8, v7
	v_cndmask_b32_e64 v8, 0, 1, vcc_lo
	v_cmp_ne_u32_e32 vcc_lo, 0, v6
	v_cvt_f64_f32_e32 v[4:5], v4
	v_lshrrev_b32_e32 v24, v21, v20
	v_bfe_u32 v26, v7, 20, 11
	v_lshl_or_b32 v8, v8, 9, 0x7c00
	v_cndmask_b32_e64 v6, 0, 1, vcc_lo
	v_cmp_gt_i32_e32 vcc_lo, 31, v15
	v_lshlrev_b32_e32 v21, v21, v24
	v_and_or_b32 v14, 0x8000, v17, v14
	v_mul_f16_sdwa v10, v34, v10 dst_sel:DWORD dst_unused:UNUSED_PAD src0_sel:WORD_1 src1_sel:DWORD
	v_and_or_b32 v6, 0xffe, v25, v6
	v_cndmask_b32_e32 v18, 0x7c00, v18, vcc_lo
	v_cmp_eq_u32_e32 vcc_lo, 0x40f, v15
	v_sub_nc_u32_e32 v25, 0x3f1, v26
	v_fma_f16 v2, v34, v23, -v10
	v_lshrrev_b32_e32 v7, 16, v7
	v_cndmask_b32_e32 v8, v18, v8, vcc_lo
	v_cmp_ne_u32_e32 vcc_lo, v21, v20
	v_add_nc_u32_e32 v18, 0xfffffc10, v22
	v_or_b32_e32 v20, 0x1000, v6
	v_med3_i32 v21, v25, 0, 13
	v_and_or_b32 v8, 0x8000, v9, v8
	v_cndmask_b32_e64 v15, 0, 1, vcc_lo
	v_mul_f64 v[4:5], v[4:5], s[2:3]
	v_lshl_or_b32 v17, v18, 12, v0
	v_lshrrev_b32_e32 v22, v21, v20
	v_cmp_gt_i32_e32 vcc_lo, 1, v18
	v_or_b32_e32 v15, v24, v15
	v_and_b32_e32 v9, 0xffff, v14
	v_cndmask_b32_e32 v14, v17, v15, vcc_lo
	v_lshlrev_b32_e32 v15, v21, v22
	v_lshl_or_b32 v16, v8, 16, v9
	v_cvt_f32_f16_e32 v8, v2
	v_add_nc_u32_e32 v17, 0xfffffc10, v26
	v_and_b32_e32 v10, 7, v14
	v_cmp_ne_u32_e32 vcc_lo, v15, v20
	v_cvt_f64_f32_e32 v[8:9], v8
	v_lshl_or_b32 v20, v17, 12, v6
	v_cmp_eq_u32_e64 s0, 3, v10
	v_cndmask_b32_e64 v15, 0, 1, vcc_lo
	v_add_co_u32 v2, vcc_lo, v12, s5
	v_add_co_ci_u32_e32 v3, vcc_lo, s4, v13, vcc_lo
	v_cmp_lt_i32_e32 vcc_lo, 5, v10
	v_lshrrev_b32_e32 v10, 2, v14
	v_and_or_b32 v4, 0x1ff, v5, v4
	v_or_b32_e32 v15, v22, v15
	v_cmp_gt_i32_e64 s1, 1, v17
	s_or_b32 vcc_lo, s0, vcc_lo
	v_lshrrev_b32_e32 v22, 16, v11
	v_add_co_ci_u32_e32 v10, vcc_lo, 0, v10, vcc_lo
	v_cmp_ne_u32_e32 vcc_lo, 0, v4
	v_cndmask_b32_e64 v14, v20, v15, s1
	v_lshrrev_b32_e32 v15, 8, v5
	v_bfe_u32 v20, v5, 20, 11
	v_mul_f16_sdwa v24, v33, v22 dst_sel:DWORD dst_unused:UNUSED_PAD src0_sel:WORD_1 src1_sel:DWORD
	v_cndmask_b32_e64 v4, 0, 1, vcc_lo
	v_cmp_ne_u32_e32 vcc_lo, 0, v0
	v_and_b32_e32 v21, 7, v14
	v_lshrrev_b32_e32 v14, 2, v14
	v_mul_f64 v[8:9], v[8:9], s[2:3]
	v_and_or_b32 v4, 0xffe, v15, v4
	v_cndmask_b32_e64 v0, 0, 1, vcc_lo
	v_cmp_gt_i32_e32 vcc_lo, 31, v18
	v_cmp_eq_u32_e64 s0, 3, v21
	v_sub_nc_u32_e32 v15, 0x3f1, v20
	v_or_b32_e32 v23, 0x1000, v4
	v_fmac_f16_e32 v24, v33, v11
	v_cndmask_b32_e32 v10, 0x7c00, v10, vcc_lo
	v_cmp_lt_i32_e32 vcc_lo, 5, v21
	v_med3_i32 v15, v15, 0, 13
	v_lshl_or_b32 v0, v0, 9, 0x7c00
	v_cvt_f32_f16_e32 v24, v24
	global_store_dword v[12:13], v19, off
	global_store_dword v[2:3], v16, off
	s_or_b32 vcc_lo, s0, vcc_lo
	v_lshrrev_b32_e32 v21, v15, v23
	v_add_co_ci_u32_e32 v14, vcc_lo, 0, v14, vcc_lo
	v_cmp_ne_u32_e32 vcc_lo, 0, v6
	v_lshrrev_b32_e32 v5, 16, v5
	v_lshlrev_b32_e32 v25, v15, v21
	v_and_or_b32 v8, 0x1ff, v9, v8
	v_cndmask_b32_e64 v6, 0, 1, vcc_lo
	v_cmp_gt_i32_e32 vcc_lo, 31, v17
	v_lshl_or_b32 v6, v6, 9, 0x7c00
	v_cndmask_b32_e32 v26, 0x7c00, v14, vcc_lo
	v_cmp_eq_u32_e32 vcc_lo, 0x40f, v18
	v_cvt_f64_f32_e32 v[14:15], v24
	v_bfe_u32 v18, v9, 20, 11
	v_cndmask_b32_e32 v0, v10, v0, vcc_lo
	v_cmp_eq_u32_e32 vcc_lo, 0x40f, v17
	v_add_nc_u32_e32 v17, 0xfffffc10, v20
	v_and_or_b32 v0, 0x8000, v1, v0
	v_cndmask_b32_e32 v6, v26, v6, vcc_lo
	v_cmp_ne_u32_e32 vcc_lo, v25, v23
	v_lshl_or_b32 v20, v17, 12, v4
	v_and_or_b32 v6, 0x8000, v7, v6
	v_cndmask_b32_e64 v10, 0, 1, vcc_lo
	v_cmp_ne_u32_e32 vcc_lo, 0, v8
	v_lshrrev_b32_e32 v8, 8, v9
	v_sub_nc_u32_e32 v7, 0x3f1, v18
	v_lshrrev_b32_e32 v9, 16, v9
	v_or_b32_e32 v10, v21, v10
	v_cndmask_b32_e64 v1, 0, 1, vcc_lo
	v_and_b32_e32 v21, 0xffff, v0
	v_cmp_gt_i32_e32 vcc_lo, 1, v17
	v_and_or_b32 v8, 0xffe, v8, v1
	v_mul_f64 v[0:1], v[14:15], s[2:3]
	v_cndmask_b32_e32 v14, v20, v10, vcc_lo
	v_med3_i32 v20, v7, 0, 13
	v_lshl_or_b32 v12, v6, 16, v21
	v_or_b32_e32 v15, 0x1000, v8
	ds_read2_b32 v[6:7], v31 offset0:238 offset1:255
	v_mul_f16_sdwa v10, v33, v11 dst_sel:DWORD dst_unused:UNUSED_PAD src0_sel:WORD_1 src1_sel:DWORD
	v_and_b32_e32 v13, 7, v14
	v_lshrrev_b32_e32 v16, v20, v15
	v_fma_f16 v19, v33, v22, -v10
	v_add_co_u32 v10, vcc_lo, v2, s5
	v_lshlrev_b32_e32 v20, v20, v16
	v_add_co_ci_u32_e32 v11, vcc_lo, s4, v3, vcc_lo
	v_cvt_f32_f16_e32 v2, v19
	v_cmp_lt_i32_e32 vcc_lo, 5, v13
	v_cmp_ne_u32_e64 s1, v20, v15
	v_cmp_eq_u32_e64 s0, 3, v13
	global_store_dword v[10:11], v12, off
	v_and_or_b32 v0, 0x1ff, v1, v0
	v_lshrrev_b32_e32 v12, 2, v14
	v_cndmask_b32_e64 v13, 0, 1, s1
	v_add_nc_u32_e32 v14, 0xfffffc10, v18
	v_cvt_f64_f32_e32 v[2:3], v2
	v_cmp_ne_u32_e64 s1, 0, v0
	s_waitcnt lgkmcnt(0)
	v_lshrrev_b32_e32 v15, 16, v6
	v_or_b32_e32 v13, v16, v13
	v_lshl_or_b32 v16, v14, 12, v8
	s_or_b32 vcc_lo, s0, vcc_lo
	v_cndmask_b32_e64 v0, 0, 1, s1
	v_cmp_gt_i32_e64 s1, 1, v14
	v_mul_f16_sdwa v20, v32, v15 dst_sel:DWORD dst_unused:UNUSED_PAD src0_sel:WORD_1 src1_sel:DWORD
	v_lshrrev_b32_e32 v18, 8, v1
	v_bfe_u32 v19, v1, 20, 11
	v_add_co_ci_u32_e32 v21, vcc_lo, 0, v12, vcc_lo
	v_cndmask_b32_e64 v16, v16, v13, s1
	v_cmp_ne_u32_e32 vcc_lo, 0, v4
	v_fmac_f16_e32 v20, v32, v6
	v_and_or_b32 v0, 0xffe, v18, v0
	v_sub_nc_u32_e32 v18, 0x3f1, v19
	v_and_b32_e32 v12, 7, v16
	v_cndmask_b32_e64 v4, 0, 1, vcc_lo
	v_cvt_f32_f16_e32 v13, v20
	v_lshrrev_b32_e32 v16, 2, v16
	v_or_b32_e32 v22, 0x1000, v0
	v_cmp_lt_i32_e32 vcc_lo, 5, v12
	v_cmp_eq_u32_e64 s0, 3, v12
	v_med3_i32 v18, v18, 0, 13
	v_cmp_gt_i32_e64 s1, 31, v17
	v_mul_f64 v[2:3], v[2:3], s[2:3]
	v_cvt_f64_f32_e32 v[12:13], v13
	s_or_b32 vcc_lo, s0, vcc_lo
	v_lshrrev_b32_e32 v20, v18, v22
	v_add_co_ci_u32_e32 v16, vcc_lo, 0, v16, vcc_lo
	v_cndmask_b32_e64 v21, 0x7c00, v21, s1
	v_lshl_or_b32 v4, v4, 9, 0x7c00
	v_cmp_eq_u32_e32 vcc_lo, 0x40f, v17
	v_lshlrev_b32_e32 v18, v18, v20
	v_mul_f16_sdwa v6, v32, v6 dst_sel:DWORD dst_unused:UNUSED_PAD src0_sel:WORD_1 src1_sel:DWORD
	v_cndmask_b32_e32 v4, v21, v4, vcc_lo
	v_cmp_ne_u32_e32 vcc_lo, 0, v8
	v_and_or_b32 v4, 0x8000, v5, v4
	v_cndmask_b32_e64 v8, 0, 1, vcc_lo
	v_cmp_ne_u32_e32 vcc_lo, v18, v22
	v_add_nc_u32_e32 v18, 0xfffffc10, v19
	v_and_or_b32 v2, 0x1ff, v3, v2
	v_mul_f64 v[12:13], v[12:13], s[2:3]
	v_lshl_or_b32 v8, v8, 9, 0x7c00
	v_cndmask_b32_e64 v17, 0, 1, vcc_lo
	v_cmp_gt_i32_e32 vcc_lo, 31, v14
	v_lshl_or_b32 v19, v18, 12, v0
	v_fma_f16 v5, v32, v15, -v6
	v_lshrrev_b32_e32 v22, 16, v7
	v_or_b32_e32 v17, v20, v17
	v_cndmask_b32_e32 v16, 0x7c00, v16, vcc_lo
	v_cmp_gt_i32_e32 vcc_lo, 1, v18
	v_cvt_f32_f16_e32 v5, v5
	v_cndmask_b32_e32 v17, v19, v17, vcc_lo
	v_cmp_ne_u32_e32 vcc_lo, 0, v2
	v_lshrrev_b32_e32 v19, 8, v3
	v_lshrrev_b32_e32 v15, 2, v17
	v_cndmask_b32_e64 v2, 0, 1, vcc_lo
	v_cmp_eq_u32_e32 vcc_lo, 0x40f, v14
	v_bfe_u32 v14, v3, 20, 11
	v_and_or_b32 v12, 0x1ff, v13, v12
	v_bfe_u32 v20, v13, 20, 11
	v_and_or_b32 v19, 0xffe, v19, v2
	v_cndmask_b32_e32 v8, v16, v8, vcc_lo
	v_and_b32_e32 v16, 7, v17
	v_sub_nc_u32_e32 v2, 0x3f1, v14
	v_lshrrev_b32_e32 v17, 8, v13
	v_or_b32_e32 v6, 0x1000, v19
	v_and_or_b32 v8, 0x8000, v9, v8
	v_cmp_lt_i32_e32 vcc_lo, 5, v16
	v_cmp_eq_u32_e64 s0, 3, v16
	v_med3_i32 v2, v2, 0, 13
	v_and_b32_e32 v9, 0xffff, v4
	v_cvt_f64_f32_e32 v[4:5], v5
	v_lshrrev_b32_e32 v3, 16, v3
	s_or_b32 vcc_lo, s0, vcc_lo
	v_lshrrev_b32_e32 v16, v2, v6
	v_add_co_ci_u32_e32 v15, vcc_lo, 0, v15, vcc_lo
	v_cmp_ne_u32_e32 vcc_lo, 0, v12
	v_lshlrev_b32_e32 v2, v2, v16
	v_cndmask_b32_e64 v12, 0, 1, vcc_lo
	v_cmp_gt_i32_e32 vcc_lo, 31, v18
	v_and_or_b32 v12, 0xffe, v17, v12
	v_cndmask_b32_e32 v15, 0x7c00, v15, vcc_lo
	v_sub_nc_u32_e32 v17, 0x3f1, v20
	v_cmp_ne_u32_e32 vcc_lo, v2, v6
	v_add_nc_u32_e32 v6, 0xfffffc10, v14
	v_or_b32_e32 v14, 0x1000, v12
	v_mul_f64 v[4:5], v[4:5], s[2:3]
	v_med3_i32 v17, v17, 0, 13
	v_cndmask_b32_e64 v2, 0, 1, vcc_lo
	v_cmp_ne_u32_e32 vcc_lo, 0, v0
	v_lshrrev_b32_e32 v21, v17, v14
	v_or_b32_e32 v2, v16, v2
	v_cndmask_b32_e64 v0, 0, 1, vcc_lo
	v_lshl_or_b32 v16, v6, 12, v19
	v_cmp_gt_i32_e32 vcc_lo, 1, v6
	v_lshl_or_b32 v0, v0, 9, 0x7c00
	v_cndmask_b32_e32 v16, v16, v2, vcc_lo
	v_lshl_or_b32 v2, v8, 16, v9
	v_lshlrev_b32_e32 v8, v17, v21
	v_cmp_eq_u32_e32 vcc_lo, 0x40f, v18
	v_mul_f16_sdwa v9, v30, v22 dst_sel:DWORD dst_unused:UNUSED_PAD src0_sel:WORD_1 src1_sel:DWORD
	v_and_b32_e32 v17, 7, v16
	v_lshrrev_b32_e32 v16, 2, v16
	v_cmp_ne_u32_e64 s0, v8, v14
	v_cndmask_b32_e32 v15, v15, v0, vcc_lo
	v_fmac_f16_e32 v9, v30, v7
	v_cmp_lt_i32_e32 vcc_lo, 5, v17
	v_lshrrev_b32_e32 v18, 16, v1
	v_cndmask_b32_e64 v0, 0, 1, s0
	v_cmp_eq_u32_e64 s0, 3, v17
	v_cvt_f32_f16_e32 v1, v9
	v_add_nc_u32_e32 v14, 0xfffffc10, v20
	v_and_or_b32 v4, 0x1ff, v5, v4
	v_or_b32_e32 v0, v21, v0
	s_or_b32 vcc_lo, s0, vcc_lo
	v_cvt_f64_f32_e32 v[8:9], v1
	v_add_co_ci_u32_e32 v16, vcc_lo, 0, v16, vcc_lo
	v_cmp_ne_u32_e32 vcc_lo, 0, v19
	v_lshl_or_b32 v1, v14, 12, v12
	v_lshrrev_b32_e32 v20, 8, v5
	v_bfe_u32 v21, v5, 20, 11
	v_and_or_b32 v15, 0x8000, v18, v15
	v_cndmask_b32_e64 v17, 0, 1, vcc_lo
	v_cmp_gt_i32_e32 vcc_lo, 1, v14
	v_mul_f16_sdwa v7, v30, v7 dst_sel:DWORD dst_unused:UNUSED_PAD src0_sel:WORD_1 src1_sel:DWORD
	v_lshrrev_b32_e32 v5, 16, v5
	v_and_b32_e32 v15, 0xffff, v15
	v_lshl_or_b32 v17, v17, 9, 0x7c00
	v_cndmask_b32_e32 v19, v1, v0, vcc_lo
	v_cmp_ne_u32_e32 vcc_lo, 0, v4
	v_fma_f16 v7, v30, v22, -v7
	v_cndmask_b32_e64 v4, 0, 1, vcc_lo
	v_cmp_gt_i32_e32 vcc_lo, 31, v6
	v_mul_f64 v[8:9], v[8:9], s[2:3]
	v_cndmask_b32_e32 v16, 0x7c00, v16, vcc_lo
	v_add_co_u32 v0, vcc_lo, v10, s5
	v_add_co_ci_u32_e32 v1, vcc_lo, s4, v11, vcc_lo
	v_and_or_b32 v11, 0xffe, v20, v4
	v_sub_nc_u32_e32 v4, 0x3f1, v21
	v_cmp_eq_u32_e32 vcc_lo, 0x40f, v6
	v_and_b32_e32 v10, 7, v19
	v_med3_i32 v4, v4, 0, 13
	v_cndmask_b32_e32 v6, v16, v17, vcc_lo
	v_or_b32_e32 v16, 0x1000, v11
	v_cmp_lt_i32_e32 vcc_lo, 5, v10
	v_cmp_eq_u32_e64 s0, 3, v10
	v_lshrrev_b32_e32 v10, 2, v19
	v_and_or_b32 v3, 0x8000, v3, v6
	v_lshrrev_b32_e32 v6, v4, v16
	ds_read_b32 v17, v31 offset:1088
	s_or_b32 vcc_lo, s0, vcc_lo
	v_and_or_b32 v8, 0x1ff, v9, v8
	v_add_co_ci_u32_e32 v10, vcc_lo, 0, v10, vcc_lo
	v_lshlrev_b32_e32 v4, v4, v6
	v_cmp_ne_u32_e32 vcc_lo, 0, v12
	v_lshl_or_b32 v15, v3, 16, v15
	v_cvt_f32_f16_e32 v3, v7
	v_lshrrev_b32_e32 v19, 8, v9
	v_bfe_u32 v20, v9, 20, 11
	v_cndmask_b32_e64 v12, 0, 1, vcc_lo
	v_cmp_ne_u32_e32 vcc_lo, v4, v16
	v_add_nc_u32_e32 v16, 0xfffffc10, v21
	v_cvt_f64_f32_e32 v[3:4], v3
	v_lshrrev_b32_e32 v9, 16, v9
	v_cndmask_b32_e64 v7, 0, 1, vcc_lo
	v_cmp_gt_i32_e32 vcc_lo, 31, v14
	s_waitcnt lgkmcnt(0)
	v_lshrrev_b32_e32 v18, 16, v17
	v_or_b32_e32 v6, v6, v7
	v_cndmask_b32_e32 v10, 0x7c00, v10, vcc_lo
	v_cmp_ne_u32_e32 vcc_lo, 0, v8
	v_lshl_or_b32 v7, v16, 12, v11
	v_mul_f16_sdwa v21, v29, v18 dst_sel:DWORD dst_unused:UNUSED_PAD src0_sel:WORD_1 src1_sel:DWORD
	v_cndmask_b32_e64 v8, 0, 1, vcc_lo
	v_cmp_gt_i32_e32 vcc_lo, 1, v16
	v_fmac_f16_e32 v21, v29, v17
	v_mul_f16_sdwa v17, v29, v17 dst_sel:DWORD dst_unused:UNUSED_PAD src0_sel:WORD_1 src1_sel:DWORD
	v_and_or_b32 v8, 0xffe, v19, v8
	v_sub_nc_u32_e32 v19, 0x3f1, v20
	v_cndmask_b32_e32 v22, v7, v6, vcc_lo
	v_lshl_or_b32 v6, v12, 9, 0x7c00
	v_cmp_eq_u32_e32 vcc_lo, 0x40f, v14
	v_or_b32_e32 v12, 0x1000, v8
	v_med3_i32 v19, v19, 0, 13
	v_and_b32_e32 v23, 7, v22
	v_cvt_f32_f16_e32 v7, v21
	v_cndmask_b32_e32 v14, v10, v6, vcc_lo
	v_lshrrev_b32_e32 v21, 16, v13
	v_lshrrev_b32_e32 v10, v19, v12
	v_cmp_lt_i32_e32 vcc_lo, 5, v23
	v_cmp_eq_u32_e64 s0, 3, v23
	v_lshrrev_b32_e32 v13, 2, v22
	v_cvt_f64_f32_e32 v[6:7], v7
	v_lshlrev_b32_e32 v19, v19, v10
	v_mul_f64 v[3:4], v[3:4], s[2:3]
	s_or_b32 vcc_lo, s0, vcc_lo
	v_fma_f16 v17, v29, v18, -v17
	v_add_co_ci_u32_e32 v13, vcc_lo, 0, v13, vcc_lo
	v_cmp_ne_u32_e32 vcc_lo, v19, v12
	v_add_nc_u32_e32 v18, 0xfffffc10, v20
	v_cvt_f32_f16_e32 v17, v17
	v_and_or_b32 v14, 0x8000, v21, v14
	v_cndmask_b32_e64 v12, 0, 1, vcc_lo
	v_cmp_ne_u32_e32 vcc_lo, 0, v11
	v_lshl_or_b32 v22, v18, 12, v8
	v_and_b32_e32 v14, 0xffff, v14
	v_or_b32_e32 v20, v10, v12
	v_cndmask_b32_e64 v19, 0, 1, vcc_lo
	v_cmp_gt_i32_e32 vcc_lo, 31, v16
	v_cvt_f64_f32_e32 v[10:11], v17
	v_mul_f64 v[6:7], v[6:7], s[2:3]
	v_lshl_or_b32 v19, v19, 9, 0x7c00
	v_cndmask_b32_e32 v17, 0x7c00, v13, vcc_lo
	v_add_co_u32 v12, vcc_lo, v0, s5
	v_add_co_ci_u32_e32 v13, vcc_lo, s4, v1, vcc_lo
	v_cmp_gt_i32_e32 vcc_lo, 1, v18
	v_and_or_b32 v3, 0x1ff, v4, v3
	v_cndmask_b32_e32 v20, v22, v20, vcc_lo
	v_cmp_eq_u32_e32 vcc_lo, 0x40f, v16
	v_and_b32_e32 v22, 7, v20
	v_cndmask_b32_e32 v16, v17, v19, vcc_lo
	v_cmp_ne_u32_e32 vcc_lo, 0, v3
	v_lshrrev_b32_e32 v17, 8, v4
	v_bfe_u32 v19, v4, 20, 11
	v_cmp_eq_u32_e64 s0, 3, v22
	v_mul_f64 v[10:11], v[10:11], s[2:3]
	v_cndmask_b32_e64 v3, 0, 1, vcc_lo
	v_cmp_lt_i32_e32 vcc_lo, 5, v22
	v_lshrrev_b32_e32 v20, 2, v20
	v_and_or_b32 v5, 0x8000, v5, v16
	v_and_or_b32 v6, 0x1ff, v7, v6
	;; [unrolled: 1-line block ×3, first 2 shown]
	v_sub_nc_u32_e32 v17, 0x3f1, v19
	s_or_b32 vcc_lo, s0, vcc_lo
	v_lshrrev_b32_e32 v22, 8, v7
	v_add_co_ci_u32_e32 v20, vcc_lo, 0, v20, vcc_lo
	v_or_b32_e32 v16, 0x1000, v3
	v_med3_i32 v17, v17, 0, 13
	v_cmp_ne_u32_e32 vcc_lo, 0, v6
	v_bfe_u32 v23, v7, 20, 11
	v_lshrrev_b32_e32 v4, 16, v4
	v_lshrrev_b32_e32 v7, 16, v7
	;; [unrolled: 1-line block ×3, first 2 shown]
	v_cndmask_b32_e64 v6, 0, 1, vcc_lo
	v_cmp_ne_u32_e32 vcc_lo, 0, v8
	v_lshl_or_b32 v14, v5, 16, v14
	v_and_or_b32 v10, 0x1ff, v11, v10
	v_lshlrev_b32_e32 v17, v17, v21
	v_and_or_b32 v6, 0xffe, v22, v6
	v_cndmask_b32_e64 v8, 0, 1, vcc_lo
	v_sub_nc_u32_e32 v22, 0x3f1, v23
	v_lshrrev_b32_e32 v24, 8, v11
	v_cmp_ne_u32_e32 vcc_lo, v17, v16
	v_add_nc_u32_e32 v17, 0xfffffc10, v19
	v_or_b32_e32 v19, 0x1000, v6
	v_med3_i32 v22, v22, 0, 13
	v_bfe_u32 v25, v11, 20, 11
	v_cndmask_b32_e64 v16, 0, 1, vcc_lo
	v_cmp_gt_i32_e32 vcc_lo, 31, v18
	v_lshl_or_b32 v8, v8, 9, 0x7c00
	v_lshrrev_b32_e32 v26, v22, v19
	v_or_b32_e32 v16, v21, v16
	v_cndmask_b32_e32 v20, 0x7c00, v20, vcc_lo
	v_cmp_ne_u32_e32 vcc_lo, 0, v10
	v_lshl_or_b32 v21, v17, 12, v3
	v_cndmask_b32_e64 v10, 0, 1, vcc_lo
	v_cmp_gt_i32_e32 vcc_lo, 1, v17
	v_and_or_b32 v10, 0xffe, v24, v10
	v_sub_nc_u32_e32 v24, 0x3f1, v25
	v_cndmask_b32_e32 v16, v21, v16, vcc_lo
	v_lshlrev_b32_e32 v21, v22, v26
	v_cmp_eq_u32_e32 vcc_lo, 0x40f, v18
	v_or_b32_e32 v22, 0x1000, v10
	v_med3_i32 v24, v24, 0, 13
	v_and_b32_e32 v27, 7, v16
	v_lshrrev_b32_e32 v16, 2, v16
	v_cndmask_b32_e32 v8, v20, v8, vcc_lo
	v_cmp_ne_u32_e32 vcc_lo, v21, v19
	v_add_nc_u32_e32 v19, 0xfffffc10, v23
	v_lshrrev_b32_e32 v20, v24, v22
	v_cmp_eq_u32_e64 s0, 3, v27
	v_and_or_b32 v8, 0x8000, v9, v8
	v_cndmask_b32_e64 v18, 0, 1, vcc_lo
	v_lshl_or_b32 v21, v19, 12, v6
	v_lshlrev_b32_e32 v23, v24, v20
	v_cmp_gt_i32_e64 s1, 1, v19
	v_cmp_lt_i32_e32 vcc_lo, 5, v27
	v_or_b32_e32 v18, v26, v18
	v_and_b32_e32 v8, 0xffff, v8
	s_or_b32 vcc_lo, s0, vcc_lo
	v_cndmask_b32_e64 v18, v21, v18, s1
	v_cmp_ne_u32_e64 s1, v23, v22
	v_add_nc_u32_e32 v22, 0xfffffc10, v25
	v_add_co_ci_u32_e32 v16, vcc_lo, 0, v16, vcc_lo
	v_and_b32_e32 v23, 7, v18
	v_cndmask_b32_e64 v21, 0, 1, s1
	v_cmp_ne_u32_e32 vcc_lo, 0, v3
	v_cmp_gt_i32_e64 s0, 1, v22
	v_lshrrev_b32_e32 v18, 2, v18
	v_cmp_gt_i32_e64 s1, 31, v17
	v_or_b32_e32 v20, v20, v21
	v_lshl_or_b32 v21, v22, 12, v10
	v_cndmask_b32_e64 v3, 0, 1, vcc_lo
	v_cmp_lt_i32_e32 vcc_lo, 5, v23
	v_cndmask_b32_e64 v16, 0x7c00, v16, s1
	v_cmp_eq_u32_e64 s1, 0x40f, v17
	v_cndmask_b32_e64 v9, v21, v20, s0
	v_cmp_eq_u32_e64 s0, 3, v23
	v_lshl_or_b32 v3, v3, 9, 0x7c00
	v_and_b32_e32 v20, 7, v9
	s_or_b32 vcc_lo, s0, vcc_lo
	v_lshrrev_b32_e32 v9, 2, v9
	v_add_co_ci_u32_e32 v18, vcc_lo, 0, v18, vcc_lo
	v_cmp_ne_u32_e32 vcc_lo, 0, v6
	v_cmp_eq_u32_e64 s0, 3, v20
	v_cndmask_b32_e64 v3, v16, v3, s1
	v_cmp_gt_i32_e64 s1, 31, v19
	v_cndmask_b32_e64 v6, 0, 1, vcc_lo
	v_cmp_lt_i32_e32 vcc_lo, 5, v20
	v_and_or_b32 v5, 0x8000, v4, v3
	v_cndmask_b32_e64 v16, 0x7c00, v18, s1
	v_lshl_or_b32 v6, v6, 9, 0x7c00
	s_or_b32 vcc_lo, s0, vcc_lo
	v_add_co_ci_u32_e32 v9, vcc_lo, 0, v9, vcc_lo
	v_cmp_ne_u32_e32 vcc_lo, 0, v10
	v_cndmask_b32_e64 v10, 0, 1, vcc_lo
	v_cmp_eq_u32_e32 vcc_lo, 0x40f, v19
	v_lshl_or_b32 v10, v10, 9, 0x7c00
	v_cndmask_b32_e32 v6, v16, v6, vcc_lo
	v_cmp_gt_i32_e32 vcc_lo, 31, v22
	v_and_or_b32 v6, 0x8000, v7, v6
	v_cndmask_b32_e32 v9, 0x7c00, v9, vcc_lo
	v_cmp_eq_u32_e32 vcc_lo, 0x40f, v22
	v_cndmask_b32_e32 v7, v9, v10, vcc_lo
	v_lshrrev_b32_e32 v9, 16, v11
	v_add_co_u32 v3, vcc_lo, v12, s5
	v_add_co_ci_u32_e32 v4, vcc_lo, s4, v13, vcc_lo
	v_lshl_or_b32 v10, v5, 16, v8
	v_and_or_b32 v7, 0x8000, v9, v7
	v_and_b32_e32 v8, 0xffff, v6
	v_add_co_u32 v5, vcc_lo, v3, s5
	v_add_co_ci_u32_e32 v6, vcc_lo, s4, v4, vcc_lo
	v_lshl_or_b32 v9, v7, 16, v8
	v_add_co_u32 v7, vcc_lo, v5, s5
	v_add_co_ci_u32_e32 v8, vcc_lo, s4, v6, vcc_lo
	global_store_dword v[0:1], v2, off
	global_store_dword v[12:13], v15, off
	;; [unrolled: 1-line block ×5, first 2 shown]
.LBB0_2:
	s_endpgm
	.section	.rodata,"a",@progbits
	.p2align	6, 0x0
	.amdhsa_kernel bluestein_single_back_len289_dim1_half_op_CI_CI
		.amdhsa_group_segment_fixed_size 8092
		.amdhsa_private_segment_fixed_size 0
		.amdhsa_kernarg_size 104
		.amdhsa_user_sgpr_count 6
		.amdhsa_user_sgpr_private_segment_buffer 1
		.amdhsa_user_sgpr_dispatch_ptr 0
		.amdhsa_user_sgpr_queue_ptr 0
		.amdhsa_user_sgpr_kernarg_segment_ptr 1
		.amdhsa_user_sgpr_dispatch_id 0
		.amdhsa_user_sgpr_flat_scratch_init 0
		.amdhsa_user_sgpr_private_segment_size 0
		.amdhsa_wavefront_size32 1
		.amdhsa_uses_dynamic_stack 0
		.amdhsa_system_sgpr_private_segment_wavefront_offset 0
		.amdhsa_system_sgpr_workgroup_id_x 1
		.amdhsa_system_sgpr_workgroup_id_y 0
		.amdhsa_system_sgpr_workgroup_id_z 0
		.amdhsa_system_sgpr_workgroup_info 0
		.amdhsa_system_vgpr_workitem_id 0
		.amdhsa_next_free_vgpr 174
		.amdhsa_next_free_sgpr 20
		.amdhsa_reserve_vcc 1
		.amdhsa_reserve_flat_scratch 0
		.amdhsa_float_round_mode_32 0
		.amdhsa_float_round_mode_16_64 0
		.amdhsa_float_denorm_mode_32 3
		.amdhsa_float_denorm_mode_16_64 3
		.amdhsa_dx10_clamp 1
		.amdhsa_ieee_mode 1
		.amdhsa_fp16_overflow 0
		.amdhsa_workgroup_processor_mode 1
		.amdhsa_memory_ordered 1
		.amdhsa_forward_progress 0
		.amdhsa_shared_vgpr_count 0
		.amdhsa_exception_fp_ieee_invalid_op 0
		.amdhsa_exception_fp_denorm_src 0
		.amdhsa_exception_fp_ieee_div_zero 0
		.amdhsa_exception_fp_ieee_overflow 0
		.amdhsa_exception_fp_ieee_underflow 0
		.amdhsa_exception_fp_ieee_inexact 0
		.amdhsa_exception_int_div_zero 0
	.end_amdhsa_kernel
	.text
.Lfunc_end0:
	.size	bluestein_single_back_len289_dim1_half_op_CI_CI, .Lfunc_end0-bluestein_single_back_len289_dim1_half_op_CI_CI
                                        ; -- End function
	.section	.AMDGPU.csdata,"",@progbits
; Kernel info:
; codeLenInByte = 33968
; NumSgprs: 22
; NumVgprs: 174
; ScratchSize: 0
; MemoryBound: 0
; FloatMode: 240
; IeeeMode: 1
; LDSByteSize: 8092 bytes/workgroup (compile time only)
; SGPRBlocks: 2
; VGPRBlocks: 21
; NumSGPRsForWavesPerEU: 22
; NumVGPRsForWavesPerEU: 174
; Occupancy: 5
; WaveLimiterHint : 1
; COMPUTE_PGM_RSRC2:SCRATCH_EN: 0
; COMPUTE_PGM_RSRC2:USER_SGPR: 6
; COMPUTE_PGM_RSRC2:TRAP_HANDLER: 0
; COMPUTE_PGM_RSRC2:TGID_X_EN: 1
; COMPUTE_PGM_RSRC2:TGID_Y_EN: 0
; COMPUTE_PGM_RSRC2:TGID_Z_EN: 0
; COMPUTE_PGM_RSRC2:TIDIG_COMP_CNT: 0
	.text
	.p2alignl 6, 3214868480
	.fill 48, 4, 3214868480
	.type	__hip_cuid_a2d93aecf17b1bfd,@object ; @__hip_cuid_a2d93aecf17b1bfd
	.section	.bss,"aw",@nobits
	.globl	__hip_cuid_a2d93aecf17b1bfd
__hip_cuid_a2d93aecf17b1bfd:
	.byte	0                               ; 0x0
	.size	__hip_cuid_a2d93aecf17b1bfd, 1

	.ident	"AMD clang version 19.0.0git (https://github.com/RadeonOpenCompute/llvm-project roc-6.4.0 25133 c7fe45cf4b819c5991fe208aaa96edf142730f1d)"
	.section	".note.GNU-stack","",@progbits
	.addrsig
	.addrsig_sym __hip_cuid_a2d93aecf17b1bfd
	.amdgpu_metadata
---
amdhsa.kernels:
  - .args:
      - .actual_access:  read_only
        .address_space:  global
        .offset:         0
        .size:           8
        .value_kind:     global_buffer
      - .actual_access:  read_only
        .address_space:  global
        .offset:         8
        .size:           8
        .value_kind:     global_buffer
      - .actual_access:  read_only
        .address_space:  global
        .offset:         16
        .size:           8
        .value_kind:     global_buffer
      - .actual_access:  read_only
        .address_space:  global
        .offset:         24
        .size:           8
        .value_kind:     global_buffer
      - .actual_access:  read_only
        .address_space:  global
        .offset:         32
        .size:           8
        .value_kind:     global_buffer
      - .offset:         40
        .size:           8
        .value_kind:     by_value
      - .address_space:  global
        .offset:         48
        .size:           8
        .value_kind:     global_buffer
      - .address_space:  global
        .offset:         56
        .size:           8
        .value_kind:     global_buffer
      - .address_space:  global
        .offset:         64
        .size:           8
        .value_kind:     global_buffer
      - .address_space:  global
        .offset:         72
        .size:           8
        .value_kind:     global_buffer
      - .offset:         80
        .size:           4
        .value_kind:     by_value
      - .address_space:  global
        .offset:         88
        .size:           8
        .value_kind:     global_buffer
      - .address_space:  global
        .offset:         96
        .size:           8
        .value_kind:     global_buffer
    .group_segment_fixed_size: 8092
    .kernarg_segment_align: 8
    .kernarg_segment_size: 104
    .language:       OpenCL C
    .language_version:
      - 2
      - 0
    .max_flat_workgroup_size: 119
    .name:           bluestein_single_back_len289_dim1_half_op_CI_CI
    .private_segment_fixed_size: 0
    .sgpr_count:     22
    .sgpr_spill_count: 0
    .symbol:         bluestein_single_back_len289_dim1_half_op_CI_CI.kd
    .uniform_work_group_size: 1
    .uses_dynamic_stack: false
    .vgpr_count:     174
    .vgpr_spill_count: 0
    .wavefront_size: 32
    .workgroup_processor_mode: 1
amdhsa.target:   amdgcn-amd-amdhsa--gfx1030
amdhsa.version:
  - 1
  - 2
...

	.end_amdgpu_metadata
